;; amdgpu-corpus repo=GPUOpen-LibrariesAndSDKs/Orochi kind=compiled arch=gfx1201 opt=O3
	.amdgcn_target "amdgcn-amd-amdhsa--gfx1201"
	.amdhsa_code_object_version 6
	.text
	.protected	SortSinglePassKernel    ; -- Begin function SortSinglePassKernel
	.globl	SortSinglePassKernel
	.p2align	8
	.type	SortSinglePassKernel,@function
SortSinglePassKernel:                   ; @SortSinglePassKernel
; %bb.0:
	s_cmp_lg_u32 ttmp9, 0
	s_cbranch_scc0 .LBB0_2
.LBB0_1:
	s_nop 0
	s_sendmsg sendmsg(MSG_DEALLOC_VGPRS)
	s_endpgm
.LBB0_2:
	s_clause 0x1
	s_load_b96 s[40:42], s[0:1], 0x10
	s_load_b128 s[36:39], s[0:1], 0x0
	v_mul_u32_u24_e32 v25, 24, v0
	v_dual_mov_b32 v22, -1 :: v_dual_mov_b32 v21, -1
	s_delay_alu instid0(VALU_DEP_2)
	v_lshlrev_b32_e32 v33, 2, v25
	s_wait_kmcnt 0x0
	v_cmp_gt_i32_e32 vcc_lo, s40, v25
	s_and_saveexec_b32 s0, vcc_lo
	s_cbranch_execz .LBB0_4
; %bb.3:
	global_load_b32 v21, v33, s[36:37]
.LBB0_4:
	s_or_b32 exec_lo, exec_lo, s0
	v_or_b32_e32 v1, 1, v25
	s_wait_loadcnt 0x0
	ds_store_b32 v33, v21
	v_cmp_gt_i32_e64 s0, s40, v1
	s_and_saveexec_b32 s1, s0
	s_cbranch_execz .LBB0_6
; %bb.5:
	global_load_b32 v22, v33, s[36:37] offset:4
.LBB0_6:
	s_or_b32 exec_lo, exec_lo, s1
	v_or_b32_e32 v1, 2, v25
	v_dual_mov_b32 v24, -1 :: v_dual_mov_b32 v23, -1
	s_wait_loadcnt 0x0
	ds_store_b32 v33, v22 offset:4
	v_cmp_gt_i32_e64 s1, s40, v1
	s_and_saveexec_b32 s2, s1
	s_cbranch_execz .LBB0_8
; %bb.7:
	global_load_b32 v23, v33, s[36:37] offset:8
.LBB0_8:
	s_or_b32 exec_lo, exec_lo, s2
	v_or_b32_e32 v1, 3, v25
	s_wait_loadcnt 0x0
	ds_store_b32 v33, v23 offset:8
	v_cmp_gt_i32_e64 s2, s40, v1
	s_and_saveexec_b32 s3, s2
	s_cbranch_execz .LBB0_10
; %bb.9:
	global_load_b32 v24, v33, s[36:37] offset:12
.LBB0_10:
	s_or_b32 exec_lo, exec_lo, s3
	v_or_b32_e32 v1, 4, v25
	v_dual_mov_b32 v18, -1 :: v_dual_mov_b32 v17, -1
	s_wait_loadcnt 0x0
	ds_store_b32 v33, v24 offset:12
	v_cmp_gt_i32_e64 s3, s40, v1
	s_and_saveexec_b32 s4, s3
	s_cbranch_execz .LBB0_12
; %bb.11:
	global_load_b32 v17, v33, s[36:37] offset:16
.LBB0_12:
	s_or_b32 exec_lo, exec_lo, s4
	v_or_b32_e32 v1, 5, v25
	s_wait_loadcnt 0x0
	ds_store_b32 v33, v17 offset:16
	;; [unrolled: 21-line block ×3, first 2 shown]
	v_cmp_gt_i32_e64 s6, s40, v1
	s_and_saveexec_b32 s7, s6
	s_cbranch_execz .LBB0_18
; %bb.17:
	global_load_b32 v20, v33, s[36:37] offset:28
.LBB0_18:
	s_or_b32 exec_lo, exec_lo, s7
	v_dual_mov_b32 v14, -1 :: v_dual_add_nc_u32 v1, 8, v25
	v_mov_b32_e32 v13, -1
	s_wait_loadcnt 0x0
	ds_store_b32 v33, v20 offset:28
	v_cmp_gt_i32_e64 s7, s40, v1
	s_and_saveexec_b32 s8, s7
	s_cbranch_execz .LBB0_20
; %bb.19:
	global_load_b32 v13, v33, s[36:37] offset:32
.LBB0_20:
	s_or_b32 exec_lo, exec_lo, s8
	v_add_nc_u32_e32 v1, 9, v25
	s_wait_loadcnt 0x0
	ds_store_b32 v33, v13 offset:32
	v_cmp_gt_i32_e64 s8, s40, v1
	s_and_saveexec_b32 s9, s8
	s_cbranch_execz .LBB0_22
; %bb.21:
	global_load_b32 v14, v33, s[36:37] offset:36
.LBB0_22:
	s_or_b32 exec_lo, exec_lo, s9
	v_dual_mov_b32 v16, -1 :: v_dual_add_nc_u32 v1, 10, v25
	v_mov_b32_e32 v15, -1
	s_wait_loadcnt 0x0
	ds_store_b32 v33, v14 offset:36
	v_cmp_gt_i32_e64 s9, s40, v1
	s_and_saveexec_b32 s10, s9
	s_cbranch_execz .LBB0_24
; %bb.23:
	global_load_b32 v15, v33, s[36:37] offset:40
.LBB0_24:
	s_or_b32 exec_lo, exec_lo, s10
	v_add_nc_u32_e32 v1, 11, v25
	s_wait_loadcnt 0x0
	ds_store_b32 v33, v15 offset:40
	;; [unrolled: 21-line block ×6, first 2 shown]
	v_cmp_gt_i32_e64 s18, s40, v1
	s_and_saveexec_b32 s19, s18
	s_cbranch_execz .LBB0_42
; %bb.41:
	global_load_b32 v8, v33, s[36:37] offset:76
.LBB0_42:
	s_or_b32 exec_lo, exec_lo, s19
	v_dual_mov_b32 v2, -1 :: v_dual_add_nc_u32 v1, 20, v25
	s_wait_loadcnt 0x0
	ds_store_b32 v33, v8 offset:76
	v_cmp_gt_i32_e64 s19, s40, v1
	v_mov_b32_e32 v1, -1
	s_and_saveexec_b32 s20, s19
	s_cbranch_execz .LBB0_44
; %bb.43:
	global_load_b32 v1, v33, s[36:37] offset:80
.LBB0_44:
	s_or_b32 exec_lo, exec_lo, s20
	v_add_nc_u32_e32 v3, 21, v25
	s_wait_loadcnt 0x0
	ds_store_b32 v33, v1 offset:80
	v_cmp_gt_i32_e64 s20, s40, v3
	s_and_saveexec_b32 s21, s20
	s_cbranch_execz .LBB0_46
; %bb.45:
	global_load_b32 v2, v33, s[36:37] offset:84
.LBB0_46:
	s_or_b32 exec_lo, exec_lo, s21
	v_dual_mov_b32 v4, -1 :: v_dual_add_nc_u32 v3, 22, v25
	s_wait_loadcnt 0x0
	ds_store_b32 v33, v2 offset:84
	v_cmp_gt_i32_e64 s21, s40, v3
	v_mov_b32_e32 v3, -1
	s_and_saveexec_b32 s22, s21
	s_cbranch_execz .LBB0_48
; %bb.47:
	global_load_b32 v3, v33, s[36:37] offset:88
.LBB0_48:
	s_or_b32 exec_lo, exec_lo, s22
	v_add_nc_u32_e32 v25, 23, v25
	s_wait_loadcnt 0x0
	ds_store_b32 v33, v3 offset:88
	v_cmp_gt_i32_e64 s22, s40, v25
	s_and_saveexec_b32 s23, s22
	s_cbranch_execz .LBB0_50
; %bb.49:
	global_load_b32 v4, v33, s[36:37] offset:92
.LBB0_50:
	s_or_b32 exec_lo, exec_lo, s23
	s_cmp_lt_i32 s41, s42
	s_wait_loadcnt 0x0
	ds_store_b32 v33, v4 offset:92
	s_wait_dscnt 0x0
	s_barrier_signal -1
	s_barrier_wait -1
	global_inv scope:SCOPE_SE
	s_cbranch_scc0 .LBB0_149
; %bb.51:
	v_lshlrev_b32_e32 v26, 1, v0
	s_mov_b32 s30, 0
	v_lshl_add_u32 v34, v0, 5, 0x3000
	s_mov_b32 s31, s30
	v_lshlrev_b32_e32 v25, 3, v0
	v_or_b32_e32 v27, 1, v26
	s_mov_b32 s34, s30
	s_mov_b32 s35, s30
	v_mul_i32_i24_e32 v31, 0xffffffe4, v0
	v_cmp_gt_u32_e64 s23, 64, v0
	v_lshlrev_b32_e32 v37, 4, v27
	v_lshlrev_b32_e32 v39, 5, v27
	;; [unrolled: 1-line block ×6, first 2 shown]
	v_dual_mov_b32 v29, s34 :: v_dual_lshlrev_b32 v48, 3, v27
	v_dual_mov_b32 v27, s30 :: v_dual_mov_b32 v28, s31
	v_dual_mov_b32 v30, s35 :: v_dual_add_nc_u32 v35, 0x4020, v25
	v_cmp_gt_u32_e64 s24, 32, v0
	v_cmp_gt_u32_e64 s25, 16, v0
	;; [unrolled: 1-line block ×3, first 2 shown]
	s_delay_alu instid0(VALU_DEP_4)
	v_add_nc_u32_e32 v51, v35, v25
	v_dual_mov_b32 v25, 0 :: v_dual_add_nc_u32 v26, 2, v26
	v_cmp_gt_u32_e64 s27, 4, v0
	v_cmp_gt_u32_e64 s28, 2, v0
	v_cmp_eq_u32_e64 s29, 0, v0
	v_mul_u32_u24_e32 v50, 0x60, v0
	v_lshlrev_b32_e32 v36, 4, v26
	v_lshlrev_b32_e32 v38, 5, v26
	;; [unrolled: 1-line block ×7, first 2 shown]
	v_add_nc_u32_e64 v52, 24, 0
	v_add_nc_u32_e32 v53, v34, v31
	s_branch .LBB0_53
.LBB0_52:                               ;   in Loop: Header=BB0_53 Depth=1
	s_wait_alu 0xfffe
	s_or_b32 exec_lo, exec_lo, s30
	s_wait_loadcnt_dscnt 0x0
	s_barrier_signal -1
	s_barrier_wait -1
	global_inv scope:SCOPE_SE
	s_wait_loadcnt 0x0
	s_barrier_signal -1
	s_barrier_wait -1
	global_inv scope:SCOPE_SE
	s_wait_loadcnt 0x0
	s_barrier_signal -1
	s_barrier_wait -1
	global_inv scope:SCOPE_SE
	ds_load_u16 v26, v120
	v_lshl_or_b32 v31, v117, 3, v123
	s_add_co_i32 s41, s41, 8
	s_wait_alu 0xfffe
	s_cmp_ge_i32 s41, s42
	ds_load_u16 v31, v31 offset:16384
	s_wait_dscnt 0x1
	v_and_b32_e32 v32, 0xffff, v26
	v_add_nc_u16 v26, v26, 1
	s_delay_alu instid0(VALU_DEP_2)
	v_lshlrev_b32_e32 v32, 2, v32
	ds_store_b16 v120, v26
	ds_load_u16 v26, v116
	s_wait_dscnt 0x2
	v_lshl_add_u32 v31, v31, 2, v32
	v_lshl_or_b32 v32, v121, 3, v124
	ds_load_u16 v32, v32 offset:16384
	s_wait_dscnt 0x1
	v_and_b32_e32 v117, 0xffff, v26
	v_add_nc_u16 v26, v26, 1
	ds_store_b32 v31, v20
	v_lshl_or_b32 v31, v118, 3, v122
	v_lshlrev_b32_e32 v117, 2, v117
	ds_store_b16 v116, v26
	ds_load_u16 v26, v113
	ds_load_u16 v31, v31 offset:16384
	s_wait_dscnt 0x4
	v_lshl_add_u32 v20, v32, 2, v117
	s_wait_dscnt 0x1
	v_and_b32_e32 v32, 0xffff, v26
	v_add_nc_u16 v26, v26, 1
	ds_store_b32 v20, v21
	v_lshlrev_b32_e32 v32, 2, v32
	ds_store_b16 v113, v26
	ds_load_u16 v21, v110
	v_lshl_or_b32 v26, v114, 3, v119
	s_wait_dscnt 0x3
	v_lshl_add_u32 v20, v31, 2, v32
	ds_load_u16 v26, v26 offset:16384
	s_wait_dscnt 0x1
	v_and_b32_e32 v31, 0xffff, v21
	v_add_nc_u16 v21, v21, 1
	ds_store_b32 v20, v22
	v_lshl_or_b32 v22, v111, 3, v115
	v_lshlrev_b32_e32 v31, 2, v31
	ds_store_b16 v110, v21
	ds_load_u16 v21, v107
	ds_load_u16 v22, v22 offset:16384
	s_wait_dscnt 0x4
	v_lshl_add_u32 v20, v26, 2, v31
	s_wait_dscnt 0x1
	v_and_b32_e32 v26, 0xffff, v21
	v_add_nc_u16 v21, v21, 1
	ds_store_b32 v20, v23
	v_lshlrev_b32_e32 v26, 2, v26
	ds_store_b16 v107, v21
	ds_load_u16 v21, v103
	s_wait_dscnt 0x3
	v_lshl_add_u32 v20, v22, 2, v26
	v_lshl_or_b32 v22, v108, 3, v112
	ds_load_u16 v22, v22 offset:16384
	s_wait_dscnt 0x1
	v_and_b32_e32 v23, 0xffff, v21
	v_add_nc_u16 v21, v21, 1
	ds_store_b32 v20, v8
	v_lshlrev_b32_e32 v23, 2, v23
	ds_store_b16 v103, v21
	ds_load_u16 v20, v99
	v_lshl_or_b32 v21, v105, 3, v109
	s_wait_dscnt 0x3
	v_lshl_add_u32 v8, v22, 2, v23
	ds_load_u16 v21, v21 offset:16384
	s_wait_dscnt 0x1
	v_and_b32_e32 v22, 0xffff, v20
	v_add_nc_u16 v20, v20, 1
	ds_store_b32 v8, v9
	v_lshlrev_b32_e32 v22, 2, v22
	ds_store_b16 v99, v20
	ds_load_u16 v9, v98
	v_lshl_or_b32 v20, v102, 3, v106
	s_wait_dscnt 0x3
	v_lshl_add_u32 v8, v21, 2, v22
	ds_load_u16 v20, v20 offset:16384
	s_wait_dscnt 0x1
	v_and_b32_e32 v21, 0xffff, v9
	v_add_nc_u16 v9, v9, 1
	ds_store_b32 v8, v10
	v_lshl_or_b32 v10, v100, 3, v104
	v_lshlrev_b32_e32 v21, 2, v21
	ds_store_b16 v98, v9
	ds_load_u16 v9, v95
	ds_load_u16 v10, v10 offset:16384
	s_wait_dscnt 0x4
	v_lshl_add_u32 v8, v20, 2, v21
	s_wait_dscnt 0x1
	v_and_b32_e32 v20, 0xffff, v9
	v_add_nc_u16 v9, v9, 1
	ds_store_b32 v8, v11
	v_lshlrev_b32_e32 v20, 2, v20
	ds_store_b16 v95, v9
	ds_load_u16 v9, v92
	s_wait_dscnt 0x3
	v_lshl_add_u32 v8, v10, 2, v20
	v_lshl_or_b32 v10, v96, 3, v101
	ds_load_u16 v10, v10 offset:16384
	s_wait_dscnt 0x1
	v_and_b32_e32 v11, 0xffff, v9
	v_add_nc_u16 v9, v9, 1
	ds_store_b32 v8, v16
	v_lshlrev_b32_e32 v11, 2, v11
	ds_store_b16 v92, v9
	ds_load_u16 v9, v89
	s_wait_dscnt 0x3
	v_lshl_add_u32 v8, v10, 2, v11
	v_lshl_or_b32 v10, v93, 3, v97
	ds_load_u16 v10, v10 offset:16384
	;; [unrolled: 11-line block ×5, first 2 shown]
	s_wait_dscnt 0x1
	v_and_b32_e32 v11, 0xffff, v9
	v_add_nc_u16 v9, v9, 1
	ds_store_b32 v8, v4
	v_lshlrev_b32_e32 v11, 2, v11
	ds_store_b16 v79, v9
	ds_load_u16 v8, v75
	v_lshl_or_b32 v9, v81, 3, v85
	s_wait_dscnt 0x3
	v_lshl_add_u32 v4, v10, 2, v11
	ds_load_u16 v9, v9 offset:16384
	s_wait_dscnt 0x1
	v_and_b32_e32 v10, 0xffff, v8
	v_add_nc_u16 v8, v8, 1
	ds_store_b32 v4, v5
	v_lshlrev_b32_e32 v10, 2, v10
	ds_store_b16 v75, v8
	ds_load_u16 v5, v74
	v_lshl_or_b32 v8, v78, 3, v82
	s_wait_dscnt 0x3
	v_lshl_add_u32 v4, v9, 2, v10
	ds_load_u16 v8, v8 offset:16384
	s_wait_dscnt 0x1
	v_and_b32_e32 v9, 0xffff, v5
	v_add_nc_u16 v5, v5, 1
	ds_store_b32 v4, v6
	v_lshl_or_b32 v6, v76, 3, v80
	v_lshlrev_b32_e32 v9, 2, v9
	ds_store_b16 v74, v5
	ds_load_u16 v5, v71
	ds_load_u16 v6, v6 offset:16384
	s_wait_dscnt 0x4
	v_lshl_add_u32 v4, v8, 2, v9
	s_wait_dscnt 0x1
	v_and_b32_e32 v8, 0xffff, v5
	v_add_nc_u16 v5, v5, 1
	ds_store_b32 v4, v7
	v_lshlrev_b32_e32 v8, 2, v8
	ds_store_b16 v71, v5
	ds_load_u16 v5, v68
	s_wait_dscnt 0x3
	v_lshl_add_u32 v4, v6, 2, v8
	v_lshl_or_b32 v6, v72, 3, v77
	ds_load_u16 v6, v6 offset:16384
	s_wait_dscnt 0x1
	v_and_b32_e32 v7, 0xffff, v5
	v_add_nc_u16 v5, v5, 1
	ds_store_b32 v4, v12
	v_lshlrev_b32_e32 v7, 2, v7
	ds_store_b16 v68, v5
	ds_load_u16 v5, v65
	s_wait_dscnt 0x3
	v_lshl_add_u32 v4, v6, 2, v7
	v_lshl_or_b32 v6, v69, 3, v73
	ds_load_u16 v6, v6 offset:16384
	;; [unrolled: 11-line block ×5, first 2 shown]
	s_wait_dscnt 0x1
	v_and_b32_e32 v7, 0xffff, v5
	v_add_nc_u16 v5, v5, 1
	ds_store_b32 v4, v0
	v_lshlrev_b32_e32 v7, 2, v7
	ds_store_b16 v56, v5
	ds_load_u16 v4, v54
	v_lshl_or_b32 v5, v57, 3, v61
	s_wait_dscnt 0x3
	v_lshl_add_u32 v0, v6, 2, v7
	ds_load_u16 v5, v5 offset:16384
	s_wait_dscnt 0x1
	v_and_b32_e32 v6, 0xffff, v4
	v_add_nc_u16 v4, v4, 1
	ds_store_b32 v0, v1
	v_lshlrev_b32_e32 v6, 2, v6
	ds_store_b16 v54, v4
	ds_load_u16 v1, v24
	v_lshl_or_b32 v4, v55, 3, v58
	s_wait_dscnt 0x3
	v_lshl_add_u32 v0, v5, 2, v6
	ds_load_u16 v4, v4 offset:16384
	s_wait_dscnt 0x1
	v_and_b32_e32 v5, 0xffff, v1
	v_add_nc_u16 v1, v1, 1
	s_delay_alu instid0(VALU_DEP_2) | instskip(SKIP_1) | instid1(VALU_DEP_1)
	v_lshlrev_b32_e32 v5, 2, v5
	s_wait_dscnt 0x0
	v_lshl_add_u32 v4, v4, 2, v5
	ds_store_b32 v0, v2
	ds_store_b16 v24, v1
	ds_store_b32 v4, v3
	s_wait_loadcnt_dscnt 0x0
	s_barrier_signal -1
	s_barrier_wait -1
	global_inv scope:SCOPE_SE
	ds_load_b128 v[21:24], v50
	ds_load_b128 v[17:20], v50 offset:16
	ds_load_b128 v[13:16], v50 offset:32
	;; [unrolled: 1-line block ×5, first 2 shown]
	s_cbranch_scc1 .LBB0_149
.LBB0_53:                               ; =>This Loop Header: Depth=1
                                        ;     Child Loop BB0_55 Depth 2
                                        ;     Child Loop BB0_103 Depth 2
	s_wait_dscnt 0x5
	v_ashrrev_i32_e32 v0, s41, v21
	ds_store_2addr_b64 v34, v[27:28], v[29:30] offset1:1
	ds_store_2addr_b64 v34, v[27:28], v[29:30] offset0:2 offset1:3
	s_mov_b32 s31, 0
	v_bfe_u32 v122, v0, 2, 2
	v_and_b32_e32 v0, 3, v0
	s_delay_alu instid0(VALU_DEP_2) | instskip(NEXT) | instid1(VALU_DEP_2)
	v_lshlrev_b32_e32 v26, 3, v122
	v_lshlrev_b32_e32 v124, 1, v0
	s_delay_alu instid0(VALU_DEP_1) | instskip(SKIP_4) | instid1(VALU_DEP_2)
	v_add3_u32 v119, v34, v26, v124
	v_ashrrev_i32_e32 v26, s41, v22
	ds_load_u16 v0, v119
	v_bfe_u32 v120, v26, 2, 2
	v_and_b32_e32 v26, 3, v26
	v_lshlrev_b32_e32 v31, 3, v120
	s_delay_alu instid0(VALU_DEP_2) | instskip(SKIP_1) | instid1(VALU_DEP_2)
	v_lshlrev_b32_e32 v123, 1, v26
	v_ashrrev_i32_e32 v26, s41, v23
	v_add3_u32 v116, v34, v31, v123
	s_delay_alu instid0(VALU_DEP_2) | instskip(SKIP_1) | instid1(VALU_DEP_2)
	v_bfe_u32 v117, v26, 2, 2
	v_and_b32_e32 v26, 3, v26
	v_lshlrev_b32_e32 v31, 3, v117
	s_delay_alu instid0(VALU_DEP_2) | instskip(SKIP_3) | instid1(VALU_DEP_3)
	v_lshlrev_b32_e32 v121, 1, v26
	s_wait_dscnt 0x0
	v_add_nc_u16 v0, v0, 1
	v_ashrrev_i32_e32 v26, s41, v24
	v_add3_u32 v113, v34, v31, v121
	ds_store_b16 v119, v0
	ds_load_u16 v0, v116
	v_bfe_u32 v114, v26, 2, 2
	v_and_b32_e32 v26, 3, v26
	s_delay_alu instid0(VALU_DEP_2) | instskip(NEXT) | instid1(VALU_DEP_2)
	v_lshlrev_b32_e32 v31, 3, v114
	v_lshlrev_b32_e32 v118, 1, v26
	v_ashrrev_i32_e32 v26, s41, v17
	s_delay_alu instid0(VALU_DEP_2) | instskip(NEXT) | instid1(VALU_DEP_2)
	v_add3_u32 v110, v34, v31, v118
	v_bfe_u32 v111, v26, 2, 2
	v_and_b32_e32 v26, 3, v26
	s_delay_alu instid0(VALU_DEP_2) | instskip(NEXT) | instid1(VALU_DEP_2)
	v_lshlrev_b32_e32 v31, 3, v111
	v_lshlrev_b32_e32 v115, 1, v26
	s_wait_dscnt 0x0
	v_add_nc_u16 v0, v0, 1
	v_ashrrev_i32_e32 v26, s41, v18
	s_delay_alu instid0(VALU_DEP_3) | instskip(SKIP_4) | instid1(VALU_DEP_2)
	v_add3_u32 v107, v34, v31, v115
	ds_store_b16 v116, v0
	ds_load_u16 v0, v113
	v_bfe_u32 v108, v26, 2, 2
	v_and_b32_e32 v26, 3, v26
	v_lshlrev_b32_e32 v31, 3, v108
	s_delay_alu instid0(VALU_DEP_2) | instskip(SKIP_1) | instid1(VALU_DEP_2)
	v_lshlrev_b32_e32 v112, 1, v26
	v_ashrrev_i32_e32 v26, s41, v19
	v_add3_u32 v104, v34, v31, v112
	s_delay_alu instid0(VALU_DEP_2) | instskip(SKIP_1) | instid1(VALU_DEP_2)
	v_bfe_u32 v105, v26, 2, 2
	v_and_b32_e32 v26, 3, v26
	v_lshlrev_b32_e32 v31, 3, v105
	s_delay_alu instid0(VALU_DEP_2) | instskip(SKIP_3) | instid1(VALU_DEP_3)
	v_lshlrev_b32_e32 v109, 1, v26
	s_wait_dscnt 0x0
	v_add_nc_u16 v0, v0, 1
	v_ashrrev_i32_e32 v26, s41, v20
	v_add3_u32 v101, v34, v31, v109
	ds_store_b16 v113, v0
	ds_load_u16 v0, v110
	v_bfe_u32 v102, v26, 2, 2
	v_and_b32_e32 v26, 3, v26
	s_delay_alu instid0(VALU_DEP_2) | instskip(NEXT) | instid1(VALU_DEP_2)
	v_lshlrev_b32_e32 v31, 3, v102
	v_lshlrev_b32_e32 v106, 1, v26
	v_ashrrev_i32_e32 v26, s41, v13
	s_delay_alu instid0(VALU_DEP_2) | instskip(NEXT) | instid1(VALU_DEP_2)
	v_add3_u32 v98, v34, v31, v106
	v_bfe_u32 v99, v26, 2, 2
	v_and_b32_e32 v26, 3, v26
	s_delay_alu instid0(VALU_DEP_2) | instskip(NEXT) | instid1(VALU_DEP_2)
	v_lshlrev_b32_e32 v31, 3, v99
	v_lshlrev_b32_e32 v103, 1, v26
	s_wait_dscnt 0x0
	v_add_nc_u16 v0, v0, 1
	v_ashrrev_i32_e32 v26, s41, v14
	s_delay_alu instid0(VALU_DEP_3) | instskip(SKIP_4) | instid1(VALU_DEP_2)
	v_add3_u32 v95, v34, v31, v103
	ds_store_b16 v110, v0
	ds_load_u16 v0, v107
	v_bfe_u32 v96, v26, 2, 2
	v_and_b32_e32 v26, 3, v26
	v_lshlrev_b32_e32 v31, 3, v96
	s_delay_alu instid0(VALU_DEP_2) | instskip(SKIP_1) | instid1(VALU_DEP_2)
	v_lshlrev_b32_e32 v100, 1, v26
	v_ashrrev_i32_e32 v26, s41, v15
	v_add3_u32 v92, v34, v31, v100
	s_delay_alu instid0(VALU_DEP_2) | instskip(SKIP_1) | instid1(VALU_DEP_2)
	v_bfe_u32 v93, v26, 2, 2
	v_and_b32_e32 v26, 3, v26
	v_lshlrev_b32_e32 v31, 3, v93
	s_delay_alu instid0(VALU_DEP_2) | instskip(SKIP_3) | instid1(VALU_DEP_3)
	v_lshlrev_b32_e32 v97, 1, v26
	s_wait_dscnt 0x0
	v_add_nc_u16 v0, v0, 1
	v_ashrrev_i32_e32 v26, s41, v16
	v_add3_u32 v89, v34, v31, v97
	ds_store_b16 v107, v0
	ds_load_u16 v0, v104
	v_bfe_u32 v90, v26, 2, 2
	v_and_b32_e32 v26, 3, v26
	s_delay_alu instid0(VALU_DEP_2) | instskip(NEXT) | instid1(VALU_DEP_2)
	v_lshlrev_b32_e32 v31, 3, v90
	v_lshlrev_b32_e32 v94, 1, v26
	v_ashrrev_i32_e32 v26, s41, v9
	s_delay_alu instid0(VALU_DEP_2) | instskip(NEXT) | instid1(VALU_DEP_2)
	v_add3_u32 v86, v34, v31, v94
	v_bfe_u32 v87, v26, 2, 2
	v_and_b32_e32 v26, 3, v26
	s_delay_alu instid0(VALU_DEP_2) | instskip(NEXT) | instid1(VALU_DEP_2)
	v_lshlrev_b32_e32 v31, 3, v87
	v_lshlrev_b32_e32 v91, 1, v26
	s_wait_dscnt 0x0
	v_add_nc_u16 v0, v0, 1
	v_ashrrev_i32_e32 v26, s41, v10
	s_delay_alu instid0(VALU_DEP_3) | instskip(SKIP_4) | instid1(VALU_DEP_2)
	v_add3_u32 v83, v34, v31, v91
	ds_store_b16 v104, v0
	ds_load_u16 v0, v101
	v_bfe_u32 v84, v26, 2, 2
	v_and_b32_e32 v26, 3, v26
	v_lshlrev_b32_e32 v31, 3, v84
	s_delay_alu instid0(VALU_DEP_2) | instskip(SKIP_1) | instid1(VALU_DEP_2)
	v_lshlrev_b32_e32 v88, 1, v26
	v_ashrrev_i32_e32 v26, s41, v11
	v_add3_u32 v80, v34, v31, v88
	s_delay_alu instid0(VALU_DEP_2) | instskip(SKIP_1) | instid1(VALU_DEP_2)
	v_bfe_u32 v81, v26, 2, 2
	v_and_b32_e32 v26, 3, v26
	v_lshlrev_b32_e32 v31, 3, v81
	s_delay_alu instid0(VALU_DEP_2) | instskip(SKIP_3) | instid1(VALU_DEP_3)
	v_lshlrev_b32_e32 v85, 1, v26
	s_wait_dscnt 0x0
	v_add_nc_u16 v0, v0, 1
	v_ashrrev_i32_e32 v26, s41, v12
	v_add3_u32 v77, v34, v31, v85
	ds_store_b16 v101, v0
	ds_load_u16 v0, v98
	v_bfe_u32 v78, v26, 2, 2
	v_and_b32_e32 v26, 3, v26
	s_delay_alu instid0(VALU_DEP_2) | instskip(NEXT) | instid1(VALU_DEP_2)
	v_lshlrev_b32_e32 v31, 3, v78
	v_lshlrev_b32_e32 v82, 1, v26
	v_ashrrev_i32_e32 v26, s41, v5
	s_delay_alu instid0(VALU_DEP_2) | instskip(NEXT) | instid1(VALU_DEP_2)
	v_add3_u32 v74, v34, v31, v82
	v_bfe_u32 v75, v26, 2, 2
	v_and_b32_e32 v26, 3, v26
	s_delay_alu instid0(VALU_DEP_2) | instskip(NEXT) | instid1(VALU_DEP_2)
	v_lshlrev_b32_e32 v31, 3, v75
	v_lshlrev_b32_e32 v79, 1, v26
	s_wait_dscnt 0x0
	v_add_nc_u16 v0, v0, 1
	v_ashrrev_i32_e32 v26, s41, v6
	s_delay_alu instid0(VALU_DEP_3) | instskip(SKIP_4) | instid1(VALU_DEP_2)
	v_add3_u32 v71, v34, v31, v79
	ds_store_b16 v98, v0
	ds_load_u16 v0, v95
	v_bfe_u32 v72, v26, 2, 2
	v_and_b32_e32 v26, 3, v26
	v_lshlrev_b32_e32 v31, 3, v72
	s_delay_alu instid0(VALU_DEP_2) | instskip(SKIP_1) | instid1(VALU_DEP_2)
	v_lshlrev_b32_e32 v76, 1, v26
	v_ashrrev_i32_e32 v26, s41, v7
	v_add3_u32 v67, v34, v31, v76
	s_delay_alu instid0(VALU_DEP_2) | instskip(SKIP_1) | instid1(VALU_DEP_2)
	v_bfe_u32 v69, v26, 2, 2
	v_and_b32_e32 v26, 3, v26
	v_lshlrev_b32_e32 v31, 3, v69
	s_delay_alu instid0(VALU_DEP_2) | instskip(SKIP_3) | instid1(VALU_DEP_3)
	v_lshlrev_b32_e32 v73, 1, v26
	s_wait_dscnt 0x0
	v_add_nc_u16 v0, v0, 1
	v_ashrrev_i32_e32 v26, s41, v8
	v_add3_u32 v63, v34, v31, v73
	ds_store_b16 v95, v0
	ds_load_u16 v0, v92
	v_bfe_u32 v65, v26, 2, 2
	v_and_b32_e32 v26, 3, v26
	s_delay_alu instid0(VALU_DEP_2) | instskip(NEXT) | instid1(VALU_DEP_2)
	v_lshlrev_b32_e32 v31, 3, v65
	v_lshlrev_b32_e32 v70, 1, v26
	v_ashrrev_i32_e32 v26, s41, v1
	s_delay_alu instid0(VALU_DEP_2) | instskip(NEXT) | instid1(VALU_DEP_2)
	v_add3_u32 v57, v34, v31, v70
	v_bfe_u32 v60, v26, 2, 2
	v_and_b32_e32 v26, 3, v26
	s_delay_alu instid0(VALU_DEP_2) | instskip(NEXT) | instid1(VALU_DEP_2)
	v_lshlrev_b32_e32 v31, 3, v60
	v_lshlrev_b32_e32 v68, 1, v26
	s_wait_dscnt 0x0
	v_add_nc_u16 v0, v0, 1
	v_ashrrev_i32_e32 v26, s41, v2
	s_delay_alu instid0(VALU_DEP_3) | instskip(SKIP_4) | instid1(VALU_DEP_2)
	v_add3_u32 v56, v34, v31, v68
	ds_store_b16 v92, v0
	ds_load_u16 v0, v89
	v_and_b32_e32 v31, 3, v26
	v_bfe_u32 v61, v26, 2, 2
	v_lshlrev_b32_e32 v66, 1, v31
	s_delay_alu instid0(VALU_DEP_2) | instskip(NEXT) | instid1(VALU_DEP_1)
	v_lshlrev_b32_e32 v26, 3, v61
	v_add3_u32 v55, v34, v26, v66
	v_ashrrev_i32_e32 v26, s41, v3
	s_delay_alu instid0(VALU_DEP_1) | instskip(SKIP_3) | instid1(VALU_DEP_3)
	v_and_b32_e32 v31, 3, v26
	v_bfe_u32 v59, v26, 2, 2
	s_wait_dscnt 0x0
	v_add_nc_u16 v0, v0, 1
	v_lshlrev_b32_e32 v64, 1, v31
	s_delay_alu instid0(VALU_DEP_3) | instskip(SKIP_4) | instid1(VALU_DEP_1)
	v_lshlrev_b32_e32 v26, 3, v59
	ds_store_b16 v89, v0
	ds_load_u16 v0, v86
	v_add3_u32 v54, v34, v26, v64
	v_ashrrev_i32_e32 v26, s41, v4
	v_and_b32_e32 v31, 3, v26
	v_bfe_u32 v58, v26, 2, 2
	s_delay_alu instid0(VALU_DEP_2) | instskip(NEXT) | instid1(VALU_DEP_2)
	v_lshlrev_b32_e32 v62, 1, v31
	v_lshlrev_b32_e32 v26, 3, v58
	s_wait_dscnt 0x0
	v_add_nc_u16 v0, v0, 1
	ds_store_b16 v86, v0
	ds_load_u16 v0, v83
	s_wait_dscnt 0x0
	v_add_nc_u16 v0, v0, 1
	ds_store_b16 v83, v0
	ds_load_u16 v0, v80
	;; [unrolled: 4-line block ×11, first 2 shown]
	s_wait_dscnt 0x0
	v_add_nc_u16 v31, v0, 1
	v_add3_u32 v0, v34, v26, v62
	ds_store_b16 v54, v31
	ds_load_u16 v26, v0
	s_wait_dscnt 0x0
	v_add_nc_u16 v26, v26, 1
	ds_store_b16 v0, v26
	s_wait_loadcnt_dscnt 0x0
	s_barrier_signal -1
	s_barrier_wait -1
	global_inv scope:SCOPE_SE
	s_branch .LBB0_55
.LBB0_54:                               ;   in Loop: Header=BB0_55 Depth=2
	s_wait_alu 0xfffe
	s_or_b32 exec_lo, exec_lo, s30
	s_add_co_i32 s31, s31, 8
	s_wait_alu 0xfffe
	s_cmp_eq_u32 s31, 32
	s_cbranch_scc1 .LBB0_85
.LBB0_55:                               ;   Parent Loop BB0_53 Depth=1
                                        ; =>  This Inner Loop Header: Depth=2
	s_wait_alu 0xfffe
	v_add_nc_u32_e32 v125, s31, v34
	ds_load_b64 v[31:32], v125
	s_wait_dscnt 0x0
	ds_store_b64 v35, v[31:32]
	s_wait_loadcnt_dscnt 0x0
	s_barrier_signal -1
	s_barrier_wait -1
	global_inv scope:SCOPE_SE
	s_and_saveexec_b32 s33, s23
	s_cbranch_execz .LBB0_57
; %bb.56:                               ;   in Loop: Header=BB0_55 Depth=2
	ds_load_b128 v[126:129], v51
	s_wait_dscnt 0x0
	v_add_co_u32 v31, s30, v128, v126
	s_wait_alu 0xf1ff
	v_add_co_ci_u32_e64 v32, null, v129, v127, s30
	ds_store_b64 v51, v[31:32] offset:8
.LBB0_57:                               ;   in Loop: Header=BB0_55 Depth=2
	s_or_b32 exec_lo, exec_lo, s33
	s_wait_loadcnt_dscnt 0x0
	s_barrier_signal -1
	s_barrier_wait -1
	global_inv scope:SCOPE_SE
	s_and_saveexec_b32 s33, s24
	s_cbranch_execz .LBB0_59
; %bb.58:                               ;   in Loop: Header=BB0_55 Depth=2
	ds_load_b64 v[31:32], v37 offset:16408
	ds_load_b64 v[126:127], v36 offset:16408
	s_wait_dscnt 0x0
	v_add_co_u32 v31, s30, v126, v31
	s_wait_alu 0xf1ff
	v_add_co_ci_u32_e64 v32, null, v127, v32, s30
	ds_store_b64 v36, v[31:32] offset:16408
.LBB0_59:                               ;   in Loop: Header=BB0_55 Depth=2
	s_or_b32 exec_lo, exec_lo, s33
	s_wait_loadcnt_dscnt 0x0
	s_barrier_signal -1
	s_barrier_wait -1
	global_inv scope:SCOPE_SE
	s_and_saveexec_b32 s33, s25
	s_cbranch_execz .LBB0_61
; %bb.60:                               ;   in Loop: Header=BB0_55 Depth=2
	ds_load_b64 v[31:32], v39 offset:16408
	ds_load_b64 v[126:127], v38 offset:16408
	s_wait_dscnt 0x0
	v_add_co_u32 v31, s30, v126, v31
	s_wait_alu 0xf1ff
	v_add_co_ci_u32_e64 v32, null, v127, v32, s30
	ds_store_b64 v38, v[31:32] offset:16408
.LBB0_61:                               ;   in Loop: Header=BB0_55 Depth=2
	s_or_b32 exec_lo, exec_lo, s33
	s_wait_loadcnt_dscnt 0x0
	s_barrier_signal -1
	s_barrier_wait -1
	global_inv scope:SCOPE_SE
	s_and_saveexec_b32 s33, s26
	s_cbranch_execz .LBB0_63
; %bb.62:                               ;   in Loop: Header=BB0_55 Depth=2
	ds_load_b64 v[31:32], v41 offset:16408
	ds_load_b64 v[126:127], v40 offset:16408
	s_wait_dscnt 0x0
	v_add_co_u32 v31, s30, v126, v31
	s_wait_alu 0xf1ff
	v_add_co_ci_u32_e64 v32, null, v127, v32, s30
	ds_store_b64 v40, v[31:32] offset:16408
.LBB0_63:                               ;   in Loop: Header=BB0_55 Depth=2
	s_or_b32 exec_lo, exec_lo, s33
	s_wait_loadcnt_dscnt 0x0
	s_barrier_signal -1
	s_barrier_wait -1
	global_inv scope:SCOPE_SE
	s_and_saveexec_b32 s33, s27
	s_cbranch_execz .LBB0_65
; %bb.64:                               ;   in Loop: Header=BB0_55 Depth=2
	ds_load_b64 v[31:32], v43 offset:16408
	ds_load_b64 v[126:127], v42 offset:16408
	s_wait_dscnt 0x0
	v_add_co_u32 v31, s30, v126, v31
	s_wait_alu 0xf1ff
	v_add_co_ci_u32_e64 v32, null, v127, v32, s30
	ds_store_b64 v42, v[31:32] offset:16408
.LBB0_65:                               ;   in Loop: Header=BB0_55 Depth=2
	s_or_b32 exec_lo, exec_lo, s33
	s_wait_loadcnt_dscnt 0x0
	s_barrier_signal -1
	s_barrier_wait -1
	global_inv scope:SCOPE_SE
	s_and_saveexec_b32 s33, s28
	s_cbranch_execz .LBB0_67
; %bb.66:                               ;   in Loop: Header=BB0_55 Depth=2
	ds_load_b64 v[31:32], v45 offset:16408
	ds_load_b64 v[126:127], v44 offset:16408
	s_wait_dscnt 0x0
	v_add_co_u32 v31, s30, v126, v31
	s_wait_alu 0xf1ff
	v_add_co_ci_u32_e64 v32, null, v127, v32, s30
	ds_store_b64 v44, v[31:32] offset:16408
.LBB0_67:                               ;   in Loop: Header=BB0_55 Depth=2
	s_or_b32 exec_lo, exec_lo, s33
	s_wait_loadcnt_dscnt 0x0
	s_barrier_signal -1
	s_barrier_wait -1
	global_inv scope:SCOPE_SE
	s_and_saveexec_b32 s33, s29
	s_cbranch_execz .LBB0_69
; %bb.68:                               ;   in Loop: Header=BB0_55 Depth=2
	ds_load_2addr_stride64_b64 v[126:129], v52 offset0:33 offset1:34
	s_wait_dscnt 0x0
	v_add_co_u32 v31, s30, v128, v126
	s_wait_alu 0xf1ff
	v_add_co_ci_u32_e64 v32, null, v129, v127, s30
	ds_store_b64 v25, v[31:32] offset:17432
.LBB0_69:                               ;   in Loop: Header=BB0_55 Depth=2
	s_or_b32 exec_lo, exec_lo, s33
	s_wait_loadcnt_dscnt 0x0
	s_barrier_signal -1
	s_barrier_wait -1
	global_inv scope:SCOPE_SE
	s_wait_loadcnt 0x0
	s_barrier_signal -1
	s_barrier_wait -1
	global_inv scope:SCOPE_SE
	s_and_saveexec_b32 s33, s29
	s_cbranch_execz .LBB0_71
; %bb.70:                               ;   in Loop: Header=BB0_55 Depth=2
	ds_load_b64 v[31:32], v25 offset:17432
	v_mov_b32_e32 v26, v25
	s_wait_dscnt 0x0
	ds_store_b64 v25, v[31:32] offset:17440
	s_wait_loadcnt_dscnt 0x0
	global_inv scope:SCOPE_SE
	ds_store_b64 v25, v[25:26] offset:17432
	s_wait_loadcnt_dscnt 0x0
	global_inv scope:SCOPE_SE
	ds_load_2addr_stride64_b64 v[126:129], v52 offset0:33 offset1:34
	s_wait_dscnt 0x0
	v_add_co_u32 v31, s30, v128, v126
	s_wait_alu 0xf1ff
	v_add_co_ci_u32_e64 v32, null, v129, v127, s30
	ds_store_2addr_stride64_b64 v52, v[128:129], v[31:32] offset0:33 offset1:34
.LBB0_71:                               ;   in Loop: Header=BB0_55 Depth=2
	s_or_b32 exec_lo, exec_lo, s33
	s_wait_loadcnt_dscnt 0x0
	s_barrier_signal -1
	s_barrier_wait -1
	global_inv scope:SCOPE_SE
	s_and_saveexec_b32 s33, s28
	s_cbranch_execz .LBB0_73
; %bb.72:                               ;   in Loop: Header=BB0_55 Depth=2
	ds_load_b64 v[31:32], v45 offset:16408
	ds_load_b64 v[126:127], v44 offset:16408
	s_wait_dscnt 0x0
	v_add_co_u32 v31, s30, v126, v31
	s_wait_alu 0xf1ff
	v_add_co_ci_u32_e64 v32, null, v127, v32, s30
	ds_store_b64 v45, v[126:127] offset:16408
	ds_store_b64 v44, v[31:32] offset:16408
.LBB0_73:                               ;   in Loop: Header=BB0_55 Depth=2
	s_or_b32 exec_lo, exec_lo, s33
	s_wait_loadcnt_dscnt 0x0
	s_barrier_signal -1
	s_barrier_wait -1
	global_inv scope:SCOPE_SE
	s_and_saveexec_b32 s33, s27
	s_cbranch_execz .LBB0_75
; %bb.74:                               ;   in Loop: Header=BB0_55 Depth=2
	ds_load_b64 v[31:32], v43 offset:16408
	ds_load_b64 v[126:127], v42 offset:16408
	s_wait_dscnt 0x0
	v_add_co_u32 v31, s30, v126, v31
	s_wait_alu 0xf1ff
	v_add_co_ci_u32_e64 v32, null, v127, v32, s30
	ds_store_b64 v43, v[126:127] offset:16408
	ds_store_b64 v42, v[31:32] offset:16408
.LBB0_75:                               ;   in Loop: Header=BB0_55 Depth=2
	;; [unrolled: 17-line block ×5, first 2 shown]
	s_or_b32 exec_lo, exec_lo, s33
	s_wait_loadcnt_dscnt 0x0
	s_barrier_signal -1
	s_barrier_wait -1
	global_inv scope:SCOPE_SE
	s_and_saveexec_b32 s33, s23
	s_cbranch_execz .LBB0_83
; %bb.82:                               ;   in Loop: Header=BB0_55 Depth=2
	ds_load_b128 v[126:129], v51
	s_wait_dscnt 0x0
	v_add_co_u32 v130, s30, v128, v126
	s_wait_alu 0xf1ff
	v_add_co_ci_u32_e64 v131, null, v129, v127, s30
	ds_store_b128 v51, v[128:131]
.LBB0_83:                               ;   in Loop: Header=BB0_55 Depth=2
	s_or_b32 exec_lo, exec_lo, s33
	s_wait_loadcnt_dscnt 0x0
	s_barrier_signal -1
	s_barrier_wait -1
	global_inv scope:SCOPE_SE
	s_wait_loadcnt 0x0
	s_barrier_signal -1
	s_barrier_wait -1
	global_inv scope:SCOPE_SE
	ds_load_b64 v[31:32], v25 offset:17440
	s_wait_loadcnt_dscnt 0x0
	s_barrier_signal -1
	s_barrier_wait -1
	global_inv scope:SCOPE_SE
	ds_load_b64 v[126:127], v35
	s_wait_dscnt 0x0
	ds_store_b64 v125, v[126:127]
	s_and_saveexec_b32 s30, s29
	s_cbranch_execz .LBB0_54
; %bb.84:                               ;   in Loop: Header=BB0_55 Depth=2
	v_mov_b32_e32 v26, s31
	ds_store_b64 v26, v[31:32] offset:16384
	s_branch .LBB0_54
.LBB0_85:                               ;   in Loop: Header=BB0_53 Depth=1
	s_wait_loadcnt_dscnt 0x0
	s_barrier_signal -1
	s_barrier_wait -1
	global_inv scope:SCOPE_SE
	s_and_saveexec_b32 s30, s26
	s_cbranch_execz .LBB0_87
; %bb.86:                               ;   in Loop: Header=BB0_53 Depth=1
	ds_load_b32 v26, v53 offset:4096
	s_wait_dscnt 0x0
	v_lshrrev_b32_e32 v31, 16, v26
	s_delay_alu instid0(VALU_DEP_1)
	v_add_nc_u16 v26, v31, v26
	ds_store_b16 v53, v26 offset:4098
.LBB0_87:                               ;   in Loop: Header=BB0_53 Depth=1
	s_wait_alu 0xfffe
	s_or_b32 exec_lo, exec_lo, s30
	s_wait_loadcnt_dscnt 0x0
	s_barrier_signal -1
	s_barrier_wait -1
	global_inv scope:SCOPE_SE
	s_and_saveexec_b32 s30, s27
	s_cbranch_execz .LBB0_89
; %bb.88:                               ;   in Loop: Header=BB0_53 Depth=1
	ds_load_u16 v26, v46 offset:16382
	ds_load_u16 v31, v47 offset:16382
	s_wait_dscnt 0x0
	v_add_nc_u16 v26, v31, v26
	ds_store_b16 v47, v26 offset:16382
.LBB0_89:                               ;   in Loop: Header=BB0_53 Depth=1
	s_wait_alu 0xfffe
	s_or_b32 exec_lo, exec_lo, s30
	s_wait_loadcnt_dscnt 0x0
	s_barrier_signal -1
	s_barrier_wait -1
	global_inv scope:SCOPE_SE
	s_and_saveexec_b32 s30, s28
	s_cbranch_execz .LBB0_91
; %bb.90:                               ;   in Loop: Header=BB0_53 Depth=1
	ds_load_u16 v26, v48 offset:16382
	ds_load_u16 v31, v49 offset:16382
	s_wait_dscnt 0x0
	v_add_nc_u16 v26, v31, v26
	ds_store_b16 v49, v26 offset:16382
.LBB0_91:                               ;   in Loop: Header=BB0_53 Depth=1
	s_wait_alu 0xfffe
	s_or_b32 exec_lo, exec_lo, s30
	s_wait_loadcnt_dscnt 0x0
	s_barrier_signal -1
	s_barrier_wait -1
	global_inv scope:SCOPE_SE
	s_and_saveexec_b32 s30, s29
	s_cbranch_execz .LBB0_93
; %bb.92:                               ;   in Loop: Header=BB0_53 Depth=1
	ds_load_u16 v26, v25 offset:16398
	ds_load_u16 v31, v25 offset:16414
	s_wait_dscnt 0x0
	v_add_nc_u32_e32 v26, v31, v26
	ds_store_b16 v25, v26 offset:16414
.LBB0_93:                               ;   in Loop: Header=BB0_53 Depth=1
	s_wait_alu 0xfffe
	s_or_b32 exec_lo, exec_lo, s30
	s_wait_loadcnt_dscnt 0x0
	s_barrier_signal -1
	s_barrier_wait -1
	global_inv scope:SCOPE_SE
	s_wait_loadcnt 0x0
	s_barrier_signal -1
	s_barrier_wait -1
	global_inv scope:SCOPE_SE
	s_and_saveexec_b32 s30, s29
	s_cbranch_execz .LBB0_95
; %bb.94:                               ;   in Loop: Header=BB0_53 Depth=1
	ds_load_u16 v26, v25 offset:16414
	s_wait_dscnt 0x0
	ds_store_b16 v25, v26 offset:17448
	s_wait_loadcnt_dscnt 0x0
	global_inv scope:SCOPE_SE
	ds_store_b16 v25, v25 offset:16414
	s_wait_loadcnt_dscnt 0x0
	global_inv scope:SCOPE_SE
	ds_load_u16 v26, v25 offset:16398
	ds_load_u16 v31, v25 offset:16414
	s_wait_dscnt 0x0
	v_add_nc_u32_e32 v26, v31, v26
	ds_store_b16 v25, v31 offset:16398
	ds_store_b16 v25, v26 offset:16414
.LBB0_95:                               ;   in Loop: Header=BB0_53 Depth=1
	s_wait_alu 0xfffe
	s_or_b32 exec_lo, exec_lo, s30
	s_wait_loadcnt_dscnt 0x0
	s_barrier_signal -1
	s_barrier_wait -1
	global_inv scope:SCOPE_SE
	s_and_saveexec_b32 s30, s28
	s_cbranch_execz .LBB0_97
; %bb.96:                               ;   in Loop: Header=BB0_53 Depth=1
	ds_load_u16 v26, v48 offset:16382
	ds_load_u16 v31, v49 offset:16382
	s_wait_dscnt 0x0
	v_add_nc_u16 v26, v31, v26
	ds_store_b16 v48, v31 offset:16382
	ds_store_b16 v49, v26 offset:16382
.LBB0_97:                               ;   in Loop: Header=BB0_53 Depth=1
	s_wait_alu 0xfffe
	s_or_b32 exec_lo, exec_lo, s30
	s_wait_loadcnt_dscnt 0x0
	s_barrier_signal -1
	s_barrier_wait -1
	global_inv scope:SCOPE_SE
	s_and_saveexec_b32 s30, s27
	s_cbranch_execz .LBB0_99
; %bb.98:                               ;   in Loop: Header=BB0_53 Depth=1
	ds_load_u16 v26, v46 offset:16382
	ds_load_u16 v31, v47 offset:16382
	s_wait_dscnt 0x0
	v_add_nc_u16 v26, v31, v26
	ds_store_b16 v46, v31 offset:16382
	ds_store_b16 v47, v26 offset:16382
.LBB0_99:                               ;   in Loop: Header=BB0_53 Depth=1
	s_wait_alu 0xfffe
	s_or_b32 exec_lo, exec_lo, s30
	s_wait_loadcnt_dscnt 0x0
	s_barrier_signal -1
	s_barrier_wait -1
	global_inv scope:SCOPE_SE
	s_and_saveexec_b32 s30, s26
	s_cbranch_execz .LBB0_101
; %bb.100:                              ;   in Loop: Header=BB0_53 Depth=1
	ds_load_b32 v26, v53 offset:4096
	s_wait_dscnt 0x0
	v_lshrrev_b32_e32 v31, 16, v26
	s_delay_alu instid0(VALU_DEP_1) | instskip(NEXT) | instid1(VALU_DEP_1)
	v_add_nc_u16 v31, v31, v26
	v_alignbit_b32 v26, v31, v26, 16
	ds_store_b32 v53, v26 offset:4096
.LBB0_101:                              ;   in Loop: Header=BB0_53 Depth=1
	s_wait_alu 0xfffe
	s_or_b32 exec_lo, exec_lo, s30
	s_wait_loadcnt_dscnt 0x0
	s_barrier_signal -1
	s_barrier_wait -1
	global_inv scope:SCOPE_SE
	s_wait_loadcnt 0x0
	s_barrier_signal -1
	s_barrier_wait -1
	global_inv scope:SCOPE_SE
	s_wait_loadcnt 0x0
	s_barrier_signal -1
	s_barrier_wait -1
	global_inv scope:SCOPE_SE
	ds_load_u16 v26, v119
	v_lshl_or_b32 v31, v122, 3, v124
	s_mov_b32 s34, 0
	s_add_co_i32 s30, s41, 4
	s_wait_alu 0xfffe
	s_mov_b32 s35, s34
	s_mov_b32 s36, s34
	ds_load_u16 v31, v31 offset:16384
	s_mov_b32 s37, s34
	s_wait_dscnt 0x1
	v_and_b32_e32 v32, 0xffff, v26
	v_add_nc_u16 v26, v26, 1
	s_delay_alu instid0(VALU_DEP_2)
	v_lshlrev_b32_e32 v32, 2, v32
	ds_store_b16 v119, v26
	ds_load_u16 v26, v116
	s_wait_dscnt 0x2
	v_lshl_add_u32 v31, v31, 2, v32
	v_lshl_or_b32 v32, v120, 3, v123
	ds_load_u16 v32, v32 offset:16384
	s_wait_dscnt 0x1
	v_and_b32_e32 v119, 0xffff, v26
	v_add_nc_u16 v26, v26, 1
	ds_store_b32 v31, v21
	v_lshl_or_b32 v31, v117, 3, v121
	v_lshlrev_b32_e32 v119, 2, v119
	ds_store_b16 v116, v26
	ds_load_u16 v26, v113
	ds_load_u16 v31, v31 offset:16384
	s_wait_dscnt 0x4
	v_lshl_add_u32 v21, v32, 2, v119
	s_wait_dscnt 0x1
	v_and_b32_e32 v32, 0xffff, v26
	v_add_nc_u16 v26, v26, 1
	ds_store_b32 v21, v22
	v_lshlrev_b32_e32 v32, 2, v32
	ds_store_b16 v113, v26
	ds_load_u16 v22, v110
	v_lshl_or_b32 v26, v114, 3, v118
	s_wait_dscnt 0x3
	v_lshl_add_u32 v21, v31, 2, v32
	ds_load_u16 v26, v26 offset:16384
	s_wait_dscnt 0x1
	v_and_b32_e32 v31, 0xffff, v22
	v_add_nc_u16 v22, v22, 1
	ds_store_b32 v21, v23
	v_lshl_or_b32 v23, v111, 3, v115
	v_lshlrev_b32_e32 v31, 2, v31
	ds_store_b16 v110, v22
	ds_load_u16 v22, v107
	ds_load_u16 v23, v23 offset:16384
	s_wait_dscnt 0x4
	v_lshl_add_u32 v21, v26, 2, v31
	s_wait_dscnt 0x1
	v_and_b32_e32 v26, 0xffff, v22
	v_add_nc_u16 v22, v22, 1
	ds_store_b32 v21, v24
	v_lshlrev_b32_e32 v26, 2, v26
	ds_store_b16 v107, v22
	ds_load_u16 v22, v104
	s_wait_dscnt 0x3
	v_lshl_add_u32 v21, v23, 2, v26
	v_lshl_or_b32 v23, v108, 3, v112
	ds_load_u16 v23, v23 offset:16384
	s_wait_dscnt 0x1
	v_and_b32_e32 v24, 0xffff, v22
	v_add_nc_u16 v22, v22, 1
	ds_store_b32 v21, v17
	v_lshlrev_b32_e32 v24, 2, v24
	ds_store_b16 v104, v22
	ds_load_u16 v21, v101
	v_lshl_or_b32 v22, v105, 3, v109
	s_wait_dscnt 0x3
	v_lshl_add_u32 v17, v23, 2, v24
	ds_load_u16 v22, v22 offset:16384
	s_wait_dscnt 0x1
	v_and_b32_e32 v23, 0xffff, v21
	v_add_nc_u16 v21, v21, 1
	ds_store_b32 v17, v18
	v_lshlrev_b32_e32 v23, 2, v23
	ds_store_b16 v101, v21
	ds_load_u16 v18, v98
	v_lshl_or_b32 v21, v102, 3, v106
	s_wait_dscnt 0x3
	v_lshl_add_u32 v17, v22, 2, v23
	ds_load_u16 v21, v21 offset:16384
	s_wait_dscnt 0x1
	v_and_b32_e32 v22, 0xffff, v18
	v_add_nc_u16 v18, v18, 1
	ds_store_b32 v17, v19
	v_lshl_or_b32 v19, v99, 3, v103
	v_lshlrev_b32_e32 v22, 2, v22
	ds_store_b16 v98, v18
	ds_load_u16 v18, v95
	ds_load_u16 v19, v19 offset:16384
	s_wait_dscnt 0x4
	v_lshl_add_u32 v17, v21, 2, v22
	s_wait_dscnt 0x1
	v_and_b32_e32 v21, 0xffff, v18
	v_add_nc_u16 v18, v18, 1
	ds_store_b32 v17, v20
	v_lshlrev_b32_e32 v21, 2, v21
	ds_store_b16 v95, v18
	ds_load_u16 v18, v92
	s_wait_dscnt 0x3
	v_lshl_add_u32 v17, v19, 2, v21
	v_lshl_or_b32 v19, v96, 3, v100
	ds_load_u16 v19, v19 offset:16384
	s_wait_dscnt 0x1
	v_and_b32_e32 v20, 0xffff, v18
	v_add_nc_u16 v18, v18, 1
	ds_store_b32 v17, v13
	v_lshlrev_b32_e32 v20, 2, v20
	ds_store_b16 v92, v18
	ds_load_u16 v17, v89
	v_lshl_or_b32 v18, v93, 3, v97
	s_wait_dscnt 0x3
	v_lshl_add_u32 v13, v19, 2, v20
	ds_load_u16 v18, v18 offset:16384
	;; [unrolled: 44-line block ×5, first 2 shown]
	s_wait_dscnt 0x1
	v_and_b32_e32 v7, 0xffff, v5
	v_add_nc_u16 v5, v5, 1
	ds_store_b32 v1, v2
	v_lshlrev_b32_e32 v7, 2, v7
	ds_store_b16 v54, v5
	ds_load_u16 v2, v0
	v_lshl_or_b32 v5, v58, 3, v62
	s_wait_dscnt 0x3
	v_lshl_add_u32 v1, v6, 2, v7
	ds_load_u16 v5, v5 offset:16384
	s_wait_dscnt 0x1
	v_and_b32_e32 v6, 0xffff, v2
	v_add_nc_u16 v2, v2, 1
	s_delay_alu instid0(VALU_DEP_2) | instskip(SKIP_1) | instid1(VALU_DEP_1)
	v_lshlrev_b32_e32 v6, 2, v6
	s_wait_dscnt 0x0
	v_lshl_add_u32 v5, v5, 2, v6
	ds_store_b32 v1, v3
	ds_store_b16 v0, v2
	ds_store_b32 v5, v4
	s_wait_loadcnt_dscnt 0x0
	s_barrier_signal -1
	s_barrier_wait -1
	global_inv scope:SCOPE_SE
	ds_load_b128 v[20:23], v50
	ds_load_b128 v[8:11], v50 offset:16
	s_wait_alu 0xfffe
	v_dual_mov_b32 v2, s36 :: v_dual_mov_b32 v3, s37
	s_wait_dscnt 0x1
	v_ashrrev_i32_e32 v0, s30, v20
	s_delay_alu instid0(VALU_DEP_1) | instskip(SKIP_1) | instid1(VALU_DEP_2)
	v_bfe_u32 v117, v0, 2, 2
	v_and_b32_e32 v0, 3, v0
	v_lshlrev_b32_e32 v4, 3, v117
	s_delay_alu instid0(VALU_DEP_2)
	v_dual_mov_b32 v0, s34 :: v_dual_lshlrev_b32 v123, 1, v0
	v_mov_b32_e32 v1, s35
	ds_store_2addr_b64 v34, v[0:1], v[2:3] offset1:1
	ds_store_2addr_b64 v34, v[0:1], v[2:3] offset0:2 offset1:3
	v_add3_u32 v120, v34, v4, v123
	v_ashrrev_i32_e32 v1, s30, v21
	ds_load_b128 v[16:19], v50 offset:32
	ds_load_u16 v0, v120
	v_bfe_u32 v121, v1, 2, 2
	v_and_b32_e32 v1, 3, v1
	s_delay_alu instid0(VALU_DEP_2) | instskip(NEXT) | instid1(VALU_DEP_2)
	v_lshlrev_b32_e32 v2, 3, v121
	v_lshlrev_b32_e32 v124, 1, v1
	v_ashrrev_i32_e32 v1, s30, v22
	s_delay_alu instid0(VALU_DEP_2) | instskip(NEXT) | instid1(VALU_DEP_2)
	v_add3_u32 v116, v34, v2, v124
	v_bfe_u32 v118, v1, 2, 2
	v_and_b32_e32 v1, 3, v1
	s_delay_alu instid0(VALU_DEP_2) | instskip(NEXT) | instid1(VALU_DEP_2)
	v_lshlrev_b32_e32 v2, 3, v118
	v_lshlrev_b32_e32 v122, 1, v1
	s_wait_dscnt 0x0
	v_add_nc_u16 v0, v0, 1
	v_ashrrev_i32_e32 v1, s30, v23
	s_delay_alu instid0(VALU_DEP_3) | instskip(SKIP_4) | instid1(VALU_DEP_2)
	v_add3_u32 v113, v34, v2, v122
	ds_store_b16 v120, v0
	ds_load_u16 v0, v116
	v_bfe_u32 v114, v1, 2, 2
	v_and_b32_e32 v1, 3, v1
	v_lshlrev_b32_e32 v2, 3, v114
	s_delay_alu instid0(VALU_DEP_2) | instskip(SKIP_1) | instid1(VALU_DEP_2)
	v_lshlrev_b32_e32 v119, 1, v1
	v_ashrrev_i32_e32 v1, s30, v8
	v_add3_u32 v110, v34, v2, v119
	s_delay_alu instid0(VALU_DEP_2) | instskip(SKIP_1) | instid1(VALU_DEP_2)
	v_bfe_u32 v111, v1, 2, 2
	v_and_b32_e32 v1, 3, v1
	v_lshlrev_b32_e32 v2, 3, v111
	s_delay_alu instid0(VALU_DEP_2) | instskip(SKIP_3) | instid1(VALU_DEP_3)
	v_lshlrev_b32_e32 v115, 1, v1
	s_wait_dscnt 0x0
	v_add_nc_u16 v0, v0, 1
	v_ashrrev_i32_e32 v1, s30, v9
	v_add3_u32 v107, v34, v2, v115
	ds_store_b16 v116, v0
	ds_load_u16 v0, v113
	v_bfe_u32 v108, v1, 2, 2
	v_and_b32_e32 v1, 3, v1
	s_delay_alu instid0(VALU_DEP_2) | instskip(NEXT) | instid1(VALU_DEP_2)
	v_lshlrev_b32_e32 v2, 3, v108
	v_lshlrev_b32_e32 v112, 1, v1
	v_ashrrev_i32_e32 v1, s30, v10
	s_delay_alu instid0(VALU_DEP_2) | instskip(NEXT) | instid1(VALU_DEP_2)
	v_add3_u32 v103, v34, v2, v112
	v_bfe_u32 v105, v1, 2, 2
	v_and_b32_e32 v1, 3, v1
	s_delay_alu instid0(VALU_DEP_2) | instskip(NEXT) | instid1(VALU_DEP_2)
	v_lshlrev_b32_e32 v2, 3, v105
	v_lshlrev_b32_e32 v109, 1, v1
	s_wait_dscnt 0x0
	v_add_nc_u16 v0, v0, 1
	v_ashrrev_i32_e32 v1, s30, v11
	s_delay_alu instid0(VALU_DEP_3) | instskip(SKIP_4) | instid1(VALU_DEP_2)
	v_add3_u32 v99, v34, v2, v109
	ds_store_b16 v113, v0
	ds_load_u16 v0, v110
	v_bfe_u32 v102, v1, 2, 2
	v_and_b32_e32 v1, 3, v1
	v_lshlrev_b32_e32 v2, 3, v102
	s_delay_alu instid0(VALU_DEP_2) | instskip(SKIP_1) | instid1(VALU_DEP_2)
	v_lshlrev_b32_e32 v106, 1, v1
	v_ashrrev_i32_e32 v1, s30, v16
	v_add3_u32 v98, v34, v2, v106
	s_delay_alu instid0(VALU_DEP_2) | instskip(SKIP_1) | instid1(VALU_DEP_2)
	v_bfe_u32 v100, v1, 2, 2
	v_and_b32_e32 v1, 3, v1
	v_lshlrev_b32_e32 v2, 3, v100
	s_delay_alu instid0(VALU_DEP_2) | instskip(SKIP_3) | instid1(VALU_DEP_3)
	v_lshlrev_b32_e32 v104, 1, v1
	s_wait_dscnt 0x0
	v_add_nc_u16 v0, v0, 1
	v_ashrrev_i32_e32 v1, s30, v17
	v_add3_u32 v95, v34, v2, v104
	ds_store_b16 v110, v0
	ds_load_u16 v0, v107
	v_bfe_u32 v96, v1, 2, 2
	v_and_b32_e32 v1, 3, v1
	s_delay_alu instid0(VALU_DEP_2) | instskip(NEXT) | instid1(VALU_DEP_2)
	v_lshlrev_b32_e32 v2, 3, v96
	v_lshlrev_b32_e32 v101, 1, v1
	v_ashrrev_i32_e32 v1, s30, v18
	s_delay_alu instid0(VALU_DEP_2) | instskip(NEXT) | instid1(VALU_DEP_2)
	v_add3_u32 v92, v34, v2, v101
	v_bfe_u32 v93, v1, 2, 2
	v_and_b32_e32 v1, 3, v1
	s_delay_alu instid0(VALU_DEP_2) | instskip(NEXT) | instid1(VALU_DEP_2)
	v_lshlrev_b32_e32 v2, 3, v93
	v_lshlrev_b32_e32 v97, 1, v1
	s_wait_dscnt 0x0
	v_add_nc_u16 v0, v0, 1
	v_ashrrev_i32_e32 v1, s30, v19
	s_delay_alu instid0(VALU_DEP_3) | instskip(SKIP_4) | instid1(VALU_DEP_2)
	v_add3_u32 v89, v34, v2, v97
	ds_store_b16 v107, v0
	ds_load_u16 v0, v103
	v_bfe_u32 v90, v1, 2, 2
	v_and_b32_e32 v1, 3, v1
	v_lshlrev_b32_e32 v2, 3, v90
	s_delay_alu instid0(VALU_DEP_2) | instskip(NEXT) | instid1(VALU_DEP_1)
	v_lshlrev_b32_e32 v94, 1, v1
	v_add3_u32 v86, v34, v2, v94
	s_wait_dscnt 0x0
	v_add_nc_u16 v0, v0, 1
	ds_store_b16 v103, v0
	ds_load_u16 v0, v99
	s_wait_dscnt 0x0
	v_add_nc_u16 v0, v0, 1
	ds_store_b16 v99, v0
	ds_load_u16 v0, v98
	ds_load_b128 v[4:7], v50 offset:48
	ds_load_b128 v[12:15], v50 offset:64
	s_wait_dscnt 0x2
	v_add_nc_u16 v0, v0, 1
	s_wait_dscnt 0x1
	v_ashrrev_i32_e32 v1, s30, v4
	s_wait_dscnt 0x0
	v_ashrrev_i32_e32 v26, s30, v12
	ds_store_b16 v98, v0
	ds_load_u16 v0, v95
	v_bfe_u32 v87, v1, 2, 2
	v_and_b32_e32 v1, 3, v1
	v_bfe_u32 v76, v26, 2, 2
	v_and_b32_e32 v26, 3, v26
	s_delay_alu instid0(VALU_DEP_4) | instskip(NEXT) | instid1(VALU_DEP_4)
	v_lshlrev_b32_e32 v2, 3, v87
	v_lshlrev_b32_e32 v91, 1, v1
	v_ashrrev_i32_e32 v1, s30, v5
	v_lshlrev_b32_e32 v31, 3, v76
	v_lshlrev_b32_e32 v80, 1, v26
	v_ashrrev_i32_e32 v26, s30, v13
	v_add3_u32 v83, v34, v2, v91
	v_bfe_u32 v84, v1, 2, 2
	v_and_b32_e32 v1, 3, v1
	v_add3_u32 v71, v34, v31, v80
	v_bfe_u32 v72, v26, 2, 2
	v_and_b32_e32 v26, 3, v26
	v_lshlrev_b32_e32 v2, 3, v84
	v_lshlrev_b32_e32 v88, 1, v1
	s_wait_dscnt 0x0
	v_add_nc_u16 v0, v0, 1
	v_ashrrev_i32_e32 v1, s30, v6
	v_lshlrev_b32_e32 v31, 3, v72
	v_lshlrev_b32_e32 v77, 1, v26
	v_add3_u32 v79, v34, v2, v88
	ds_store_b16 v95, v0
	ds_load_u16 v0, v92
	v_bfe_u32 v81, v1, 2, 2
	v_and_b32_e32 v1, 3, v1
	v_ashrrev_i32_e32 v26, s30, v14
	v_add3_u32 v68, v34, v31, v77
	s_delay_alu instid0(VALU_DEP_4) | instskip(NEXT) | instid1(VALU_DEP_4)
	v_lshlrev_b32_e32 v2, 3, v81
	v_lshlrev_b32_e32 v85, 1, v1
	v_ashrrev_i32_e32 v1, s30, v7
	v_bfe_u32 v69, v26, 2, 2
	v_and_b32_e32 v26, 3, v26
	s_delay_alu instid0(VALU_DEP_4) | instskip(NEXT) | instid1(VALU_DEP_4)
	v_add3_u32 v75, v34, v2, v85
	v_bfe_u32 v78, v1, 2, 2
	v_and_b32_e32 v1, 3, v1
	v_lshlrev_b32_e32 v31, 3, v69
	v_lshlrev_b32_e32 v73, 1, v26
	v_ashrrev_i32_e32 v26, s30, v15
	v_lshlrev_b32_e32 v2, 3, v78
	v_lshlrev_b32_e32 v82, 1, v1
	s_wait_dscnt 0x0
	v_add_nc_u16 v0, v0, 1
	v_add3_u32 v65, v34, v31, v73
	v_bfe_u32 v66, v26, 2, 2
	v_and_b32_e32 v26, 3, v26
	v_add3_u32 v74, v34, v2, v82
	ds_store_b16 v92, v0
	ds_load_u16 v0, v89
	v_lshlrev_b32_e32 v31, 3, v66
	v_lshlrev_b32_e32 v70, 1, v26
	s_delay_alu instid0(VALU_DEP_1)
	v_add3_u32 v62, v34, v31, v70
	s_wait_dscnt 0x0
	v_add_nc_u16 v0, v0, 1
	ds_store_b16 v89, v0
	ds_load_u16 v0, v86
	s_wait_dscnt 0x0
	v_add_nc_u16 v0, v0, 1
	ds_store_b16 v86, v0
	ds_load_u16 v0, v83
	;; [unrolled: 4-line block ×5, first 2 shown]
	ds_load_b128 v[0:3], v50 offset:80
	s_wait_dscnt 0x1
	v_add_nc_u16 v24, v24, 1
	s_wait_dscnt 0x0
	v_ashrrev_i32_e32 v26, s30, v0
	ds_store_b16 v74, v24
	ds_load_u16 v24, v71
	v_bfe_u32 v63, v26, 2, 2
	v_and_b32_e32 v26, 3, v26
	s_delay_alu instid0(VALU_DEP_2) | instskip(NEXT) | instid1(VALU_DEP_2)
	v_lshlrev_b32_e32 v31, 3, v63
	v_lshlrev_b32_e32 v67, 1, v26
	v_ashrrev_i32_e32 v26, s30, v1
	s_delay_alu instid0(VALU_DEP_2) | instskip(NEXT) | instid1(VALU_DEP_2)
	v_add3_u32 v59, v34, v31, v67
	v_bfe_u32 v60, v26, 2, 2
	v_and_b32_e32 v26, 3, v26
	s_delay_alu instid0(VALU_DEP_2) | instskip(NEXT) | instid1(VALU_DEP_2)
	v_lshlrev_b32_e32 v31, 3, v60
	v_lshlrev_b32_e32 v64, 1, v26
	s_wait_dscnt 0x0
	v_add_nc_u16 v24, v24, 1
	v_ashrrev_i32_e32 v26, s30, v2
	s_delay_alu instid0(VALU_DEP_3) | instskip(SKIP_4) | instid1(VALU_DEP_2)
	v_add3_u32 v56, v34, v31, v64
	ds_store_b16 v71, v24
	ds_load_u16 v24, v68
	v_bfe_u32 v57, v26, 2, 2
	v_and_b32_e32 v26, 3, v26
	v_lshlrev_b32_e32 v31, 3, v57
	s_delay_alu instid0(VALU_DEP_2) | instskip(SKIP_1) | instid1(VALU_DEP_2)
	v_lshlrev_b32_e32 v61, 1, v26
	v_ashrrev_i32_e32 v26, s30, v3
	v_add3_u32 v54, v34, v31, v61
	s_delay_alu instid0(VALU_DEP_2) | instskip(SKIP_1) | instid1(VALU_DEP_2)
	v_bfe_u32 v55, v26, 2, 2
	v_and_b32_e32 v26, 3, v26
	v_lshlrev_b32_e32 v31, 3, v55
	s_delay_alu instid0(VALU_DEP_2)
	v_lshlrev_b32_e32 v58, 1, v26
	s_wait_dscnt 0x0
	v_add_nc_u16 v24, v24, 1
	ds_store_b16 v68, v24
	ds_load_u16 v24, v65
	s_wait_dscnt 0x0
	v_add_nc_u16 v24, v24, 1
	ds_store_b16 v65, v24
	ds_load_u16 v24, v62
	;; [unrolled: 4-line block ×5, first 2 shown]
	s_wait_dscnt 0x0
	v_add_nc_u16 v26, v24, 1
	v_add3_u32 v24, v34, v31, v58
	ds_store_b16 v54, v26
	ds_load_u16 v26, v24
	s_wait_dscnt 0x0
	v_add_nc_u16 v26, v26, 1
	ds_store_b16 v24, v26
	s_wait_loadcnt_dscnt 0x0
	s_barrier_signal -1
	s_barrier_wait -1
	global_inv scope:SCOPE_SE
	s_branch .LBB0_103
.LBB0_102:                              ;   in Loop: Header=BB0_103 Depth=2
	s_wait_alu 0xfffe
	s_or_b32 exec_lo, exec_lo, s30
	s_add_co_i32 s34, s34, 8
	s_wait_alu 0xfffe
	s_cmp_eq_u32 s34, 32
	s_cbranch_scc1 .LBB0_133
.LBB0_103:                              ;   Parent Loop BB0_53 Depth=1
                                        ; =>  This Inner Loop Header: Depth=2
	v_add_nc_u32_e32 v125, s34, v34
	ds_load_b64 v[31:32], v125
	s_wait_dscnt 0x0
	ds_store_b64 v35, v[31:32]
	s_wait_loadcnt_dscnt 0x0
	s_barrier_signal -1
	s_barrier_wait -1
	global_inv scope:SCOPE_SE
	s_and_saveexec_b32 s31, s23
	s_cbranch_execz .LBB0_105
; %bb.104:                              ;   in Loop: Header=BB0_103 Depth=2
	ds_load_b128 v[126:129], v51
	s_wait_dscnt 0x0
	v_add_co_u32 v31, s30, v128, v126
	s_wait_alu 0xf1ff
	v_add_co_ci_u32_e64 v32, null, v129, v127, s30
	ds_store_b64 v51, v[31:32] offset:8
.LBB0_105:                              ;   in Loop: Header=BB0_103 Depth=2
	s_wait_alu 0xfffe
	s_or_b32 exec_lo, exec_lo, s31
	s_wait_loadcnt_dscnt 0x0
	s_barrier_signal -1
	s_barrier_wait -1
	global_inv scope:SCOPE_SE
	s_and_saveexec_b32 s31, s24
	s_cbranch_execz .LBB0_107
; %bb.106:                              ;   in Loop: Header=BB0_103 Depth=2
	ds_load_b64 v[31:32], v37 offset:16408
	ds_load_b64 v[126:127], v36 offset:16408
	s_wait_dscnt 0x0
	v_add_co_u32 v31, s30, v126, v31
	s_wait_alu 0xf1ff
	v_add_co_ci_u32_e64 v32, null, v127, v32, s30
	ds_store_b64 v36, v[31:32] offset:16408
.LBB0_107:                              ;   in Loop: Header=BB0_103 Depth=2
	s_wait_alu 0xfffe
	s_or_b32 exec_lo, exec_lo, s31
	s_wait_loadcnt_dscnt 0x0
	s_barrier_signal -1
	s_barrier_wait -1
	global_inv scope:SCOPE_SE
	s_and_saveexec_b32 s31, s25
	s_cbranch_execz .LBB0_109
; %bb.108:                              ;   in Loop: Header=BB0_103 Depth=2
	ds_load_b64 v[31:32], v39 offset:16408
	ds_load_b64 v[126:127], v38 offset:16408
	s_wait_dscnt 0x0
	v_add_co_u32 v31, s30, v126, v31
	s_wait_alu 0xf1ff
	v_add_co_ci_u32_e64 v32, null, v127, v32, s30
	ds_store_b64 v38, v[31:32] offset:16408
.LBB0_109:                              ;   in Loop: Header=BB0_103 Depth=2
	;; [unrolled: 17-line block ×5, first 2 shown]
	s_wait_alu 0xfffe
	s_or_b32 exec_lo, exec_lo, s31
	s_wait_loadcnt_dscnt 0x0
	s_barrier_signal -1
	s_barrier_wait -1
	global_inv scope:SCOPE_SE
	s_and_saveexec_b32 s31, s29
	s_cbranch_execz .LBB0_117
; %bb.116:                              ;   in Loop: Header=BB0_103 Depth=2
	ds_load_2addr_stride64_b64 v[126:129], v52 offset0:33 offset1:34
	s_wait_dscnt 0x0
	v_add_co_u32 v31, s30, v128, v126
	s_wait_alu 0xf1ff
	v_add_co_ci_u32_e64 v32, null, v129, v127, s30
	ds_store_b64 v25, v[31:32] offset:17432
.LBB0_117:                              ;   in Loop: Header=BB0_103 Depth=2
	s_wait_alu 0xfffe
	s_or_b32 exec_lo, exec_lo, s31
	s_wait_loadcnt_dscnt 0x0
	s_barrier_signal -1
	s_barrier_wait -1
	global_inv scope:SCOPE_SE
	s_wait_loadcnt 0x0
	s_barrier_signal -1
	s_barrier_wait -1
	global_inv scope:SCOPE_SE
	s_and_saveexec_b32 s31, s29
	s_cbranch_execz .LBB0_119
; %bb.118:                              ;   in Loop: Header=BB0_103 Depth=2
	ds_load_b64 v[31:32], v25 offset:17432
	v_mov_b32_e32 v26, v25
	s_wait_dscnt 0x0
	ds_store_b64 v25, v[31:32] offset:17440
	s_wait_loadcnt_dscnt 0x0
	global_inv scope:SCOPE_SE
	ds_store_b64 v25, v[25:26] offset:17432
	s_wait_loadcnt_dscnt 0x0
	global_inv scope:SCOPE_SE
	ds_load_2addr_stride64_b64 v[126:129], v52 offset0:33 offset1:34
	s_wait_dscnt 0x0
	v_add_co_u32 v31, s30, v128, v126
	s_wait_alu 0xf1ff
	v_add_co_ci_u32_e64 v32, null, v129, v127, s30
	ds_store_2addr_stride64_b64 v52, v[128:129], v[31:32] offset0:33 offset1:34
.LBB0_119:                              ;   in Loop: Header=BB0_103 Depth=2
	s_wait_alu 0xfffe
	s_or_b32 exec_lo, exec_lo, s31
	s_wait_loadcnt_dscnt 0x0
	s_barrier_signal -1
	s_barrier_wait -1
	global_inv scope:SCOPE_SE
	s_and_saveexec_b32 s31, s28
	s_cbranch_execz .LBB0_121
; %bb.120:                              ;   in Loop: Header=BB0_103 Depth=2
	ds_load_b64 v[31:32], v45 offset:16408
	ds_load_b64 v[126:127], v44 offset:16408
	s_wait_dscnt 0x0
	v_add_co_u32 v31, s30, v126, v31
	s_wait_alu 0xf1ff
	v_add_co_ci_u32_e64 v32, null, v127, v32, s30
	ds_store_b64 v45, v[126:127] offset:16408
	ds_store_b64 v44, v[31:32] offset:16408
.LBB0_121:                              ;   in Loop: Header=BB0_103 Depth=2
	s_wait_alu 0xfffe
	s_or_b32 exec_lo, exec_lo, s31
	s_wait_loadcnt_dscnt 0x0
	s_barrier_signal -1
	s_barrier_wait -1
	global_inv scope:SCOPE_SE
	s_and_saveexec_b32 s31, s27
	s_cbranch_execz .LBB0_123
; %bb.122:                              ;   in Loop: Header=BB0_103 Depth=2
	ds_load_b64 v[31:32], v43 offset:16408
	ds_load_b64 v[126:127], v42 offset:16408
	s_wait_dscnt 0x0
	v_add_co_u32 v31, s30, v126, v31
	s_wait_alu 0xf1ff
	v_add_co_ci_u32_e64 v32, null, v127, v32, s30
	ds_store_b64 v43, v[126:127] offset:16408
	ds_store_b64 v42, v[31:32] offset:16408
.LBB0_123:                              ;   in Loop: Header=BB0_103 Depth=2
	;; [unrolled: 18-line block ×5, first 2 shown]
	s_wait_alu 0xfffe
	s_or_b32 exec_lo, exec_lo, s31
	s_wait_loadcnt_dscnt 0x0
	s_barrier_signal -1
	s_barrier_wait -1
	global_inv scope:SCOPE_SE
	s_and_saveexec_b32 s31, s23
	s_cbranch_execz .LBB0_131
; %bb.130:                              ;   in Loop: Header=BB0_103 Depth=2
	ds_load_b128 v[126:129], v51
	s_wait_dscnt 0x0
	v_add_co_u32 v130, s30, v128, v126
	s_wait_alu 0xf1ff
	v_add_co_ci_u32_e64 v131, null, v129, v127, s30
	ds_store_b128 v51, v[128:131]
.LBB0_131:                              ;   in Loop: Header=BB0_103 Depth=2
	s_wait_alu 0xfffe
	s_or_b32 exec_lo, exec_lo, s31
	s_wait_loadcnt_dscnt 0x0
	s_barrier_signal -1
	s_barrier_wait -1
	global_inv scope:SCOPE_SE
	s_wait_loadcnt 0x0
	s_barrier_signal -1
	s_barrier_wait -1
	global_inv scope:SCOPE_SE
	ds_load_b64 v[31:32], v25 offset:17440
	s_wait_loadcnt_dscnt 0x0
	s_barrier_signal -1
	s_barrier_wait -1
	global_inv scope:SCOPE_SE
	ds_load_b64 v[126:127], v35
	s_wait_dscnt 0x0
	ds_store_b64 v125, v[126:127]
	s_and_saveexec_b32 s30, s29
	s_cbranch_execz .LBB0_102
; %bb.132:                              ;   in Loop: Header=BB0_103 Depth=2
	v_mov_b32_e32 v26, s34
	ds_store_b64 v26, v[31:32] offset:16384
	s_branch .LBB0_102
.LBB0_133:                              ;   in Loop: Header=BB0_53 Depth=1
	s_wait_loadcnt_dscnt 0x0
	s_barrier_signal -1
	s_barrier_wait -1
	global_inv scope:SCOPE_SE
	s_and_saveexec_b32 s30, s26
	s_cbranch_execz .LBB0_135
; %bb.134:                              ;   in Loop: Header=BB0_53 Depth=1
	ds_load_b32 v26, v53 offset:4096
	s_wait_dscnt 0x0
	v_lshrrev_b32_e32 v31, 16, v26
	s_delay_alu instid0(VALU_DEP_1)
	v_add_nc_u16 v26, v31, v26
	ds_store_b16 v53, v26 offset:4098
.LBB0_135:                              ;   in Loop: Header=BB0_53 Depth=1
	s_wait_alu 0xfffe
	s_or_b32 exec_lo, exec_lo, s30
	s_wait_loadcnt_dscnt 0x0
	s_barrier_signal -1
	s_barrier_wait -1
	global_inv scope:SCOPE_SE
	s_and_saveexec_b32 s30, s27
	s_cbranch_execz .LBB0_137
; %bb.136:                              ;   in Loop: Header=BB0_53 Depth=1
	ds_load_u16 v26, v46 offset:16382
	ds_load_u16 v31, v47 offset:16382
	s_wait_dscnt 0x0
	v_add_nc_u16 v26, v31, v26
	ds_store_b16 v47, v26 offset:16382
.LBB0_137:                              ;   in Loop: Header=BB0_53 Depth=1
	s_wait_alu 0xfffe
	s_or_b32 exec_lo, exec_lo, s30
	s_wait_loadcnt_dscnt 0x0
	s_barrier_signal -1
	s_barrier_wait -1
	global_inv scope:SCOPE_SE
	s_and_saveexec_b32 s30, s28
	s_cbranch_execz .LBB0_139
; %bb.138:                              ;   in Loop: Header=BB0_53 Depth=1
	ds_load_u16 v26, v48 offset:16382
	ds_load_u16 v31, v49 offset:16382
	s_wait_dscnt 0x0
	v_add_nc_u16 v26, v31, v26
	ds_store_b16 v49, v26 offset:16382
.LBB0_139:                              ;   in Loop: Header=BB0_53 Depth=1
	s_wait_alu 0xfffe
	s_or_b32 exec_lo, exec_lo, s30
	s_wait_loadcnt_dscnt 0x0
	s_barrier_signal -1
	s_barrier_wait -1
	global_inv scope:SCOPE_SE
	s_and_saveexec_b32 s30, s29
	s_cbranch_execz .LBB0_141
; %bb.140:                              ;   in Loop: Header=BB0_53 Depth=1
	ds_load_u16 v26, v25 offset:16398
	ds_load_u16 v31, v25 offset:16414
	s_wait_dscnt 0x0
	v_add_nc_u32_e32 v26, v31, v26
	ds_store_b16 v25, v26 offset:16414
.LBB0_141:                              ;   in Loop: Header=BB0_53 Depth=1
	s_wait_alu 0xfffe
	s_or_b32 exec_lo, exec_lo, s30
	s_wait_loadcnt_dscnt 0x0
	s_barrier_signal -1
	s_barrier_wait -1
	global_inv scope:SCOPE_SE
	s_wait_loadcnt 0x0
	s_barrier_signal -1
	s_barrier_wait -1
	global_inv scope:SCOPE_SE
	s_and_saveexec_b32 s30, s29
	s_cbranch_execz .LBB0_143
; %bb.142:                              ;   in Loop: Header=BB0_53 Depth=1
	ds_load_u16 v26, v25 offset:16414
	s_wait_dscnt 0x0
	ds_store_b16 v25, v26 offset:17448
	s_wait_loadcnt_dscnt 0x0
	global_inv scope:SCOPE_SE
	ds_store_b16 v25, v25 offset:16414
	s_wait_loadcnt_dscnt 0x0
	global_inv scope:SCOPE_SE
	ds_load_u16 v26, v25 offset:16398
	ds_load_u16 v31, v25 offset:16414
	s_wait_dscnt 0x0
	v_add_nc_u32_e32 v26, v31, v26
	ds_store_b16 v25, v31 offset:16398
	ds_store_b16 v25, v26 offset:16414
.LBB0_143:                              ;   in Loop: Header=BB0_53 Depth=1
	s_wait_alu 0xfffe
	s_or_b32 exec_lo, exec_lo, s30
	s_wait_loadcnt_dscnt 0x0
	s_barrier_signal -1
	s_barrier_wait -1
	global_inv scope:SCOPE_SE
	s_and_saveexec_b32 s30, s28
	s_cbranch_execz .LBB0_145
; %bb.144:                              ;   in Loop: Header=BB0_53 Depth=1
	ds_load_u16 v26, v48 offset:16382
	ds_load_u16 v31, v49 offset:16382
	s_wait_dscnt 0x0
	v_add_nc_u16 v26, v31, v26
	ds_store_b16 v48, v31 offset:16382
	ds_store_b16 v49, v26 offset:16382
.LBB0_145:                              ;   in Loop: Header=BB0_53 Depth=1
	s_wait_alu 0xfffe
	s_or_b32 exec_lo, exec_lo, s30
	s_wait_loadcnt_dscnt 0x0
	s_barrier_signal -1
	s_barrier_wait -1
	global_inv scope:SCOPE_SE
	s_and_saveexec_b32 s30, s27
	s_cbranch_execz .LBB0_147
; %bb.146:                              ;   in Loop: Header=BB0_53 Depth=1
	ds_load_u16 v26, v46 offset:16382
	ds_load_u16 v31, v47 offset:16382
	s_wait_dscnt 0x0
	v_add_nc_u16 v26, v31, v26
	ds_store_b16 v46, v31 offset:16382
	ds_store_b16 v47, v26 offset:16382
.LBB0_147:                              ;   in Loop: Header=BB0_53 Depth=1
	s_wait_alu 0xfffe
	s_or_b32 exec_lo, exec_lo, s30
	s_wait_loadcnt_dscnt 0x0
	s_barrier_signal -1
	s_barrier_wait -1
	global_inv scope:SCOPE_SE
	s_and_saveexec_b32 s30, s26
	s_cbranch_execz .LBB0_52
; %bb.148:                              ;   in Loop: Header=BB0_53 Depth=1
	ds_load_b32 v26, v53 offset:4096
	s_wait_dscnt 0x0
	v_lshrrev_b32_e32 v31, 16, v26
	s_delay_alu instid0(VALU_DEP_1) | instskip(NEXT) | instid1(VALU_DEP_1)
	v_add_nc_u16 v31, v31, v26
	v_alignbit_b32 v26, v31, v26, 16
	ds_store_b32 v53, v26 offset:4096
	s_branch .LBB0_52
.LBB0_149:
	s_and_saveexec_b32 s23, vcc_lo
	s_cbranch_execnz .LBB0_173
; %bb.150:
	s_or_b32 exec_lo, exec_lo, s23
	s_and_saveexec_b32 s23, s0
	s_cbranch_execnz .LBB0_174
.LBB0_151:
	s_or_b32 exec_lo, exec_lo, s23
	s_and_saveexec_b32 s0, s1
	s_cbranch_execnz .LBB0_175
.LBB0_152:
	s_or_b32 exec_lo, exec_lo, s0
	s_and_saveexec_b32 s0, s2
	s_cbranch_execnz .LBB0_176
.LBB0_153:
	s_or_b32 exec_lo, exec_lo, s0
	s_and_saveexec_b32 s0, s3
	s_cbranch_execnz .LBB0_177
.LBB0_154:
	s_or_b32 exec_lo, exec_lo, s0
	s_and_saveexec_b32 s0, s4
	s_cbranch_execnz .LBB0_178
.LBB0_155:
	s_or_b32 exec_lo, exec_lo, s0
	s_and_saveexec_b32 s0, s5
	s_cbranch_execnz .LBB0_179
.LBB0_156:
	s_or_b32 exec_lo, exec_lo, s0
	s_and_saveexec_b32 s0, s6
	s_cbranch_execnz .LBB0_180
.LBB0_157:
	s_or_b32 exec_lo, exec_lo, s0
	s_and_saveexec_b32 s0, s7
	s_cbranch_execnz .LBB0_181
.LBB0_158:
	s_or_b32 exec_lo, exec_lo, s0
	s_and_saveexec_b32 s0, s8
	s_cbranch_execnz .LBB0_182
.LBB0_159:
	s_or_b32 exec_lo, exec_lo, s0
	s_and_saveexec_b32 s0, s9
	s_cbranch_execnz .LBB0_183
.LBB0_160:
	s_or_b32 exec_lo, exec_lo, s0
	s_and_saveexec_b32 s0, s10
	s_cbranch_execnz .LBB0_184
.LBB0_161:
	s_or_b32 exec_lo, exec_lo, s0
	s_and_saveexec_b32 s0, s11
	s_cbranch_execnz .LBB0_185
.LBB0_162:
	s_or_b32 exec_lo, exec_lo, s0
	s_and_saveexec_b32 s0, s12
	s_cbranch_execnz .LBB0_186
.LBB0_163:
	s_or_b32 exec_lo, exec_lo, s0
	s_and_saveexec_b32 s0, s13
	s_cbranch_execnz .LBB0_187
.LBB0_164:
	s_or_b32 exec_lo, exec_lo, s0
	s_and_saveexec_b32 s0, s14
	s_cbranch_execnz .LBB0_188
.LBB0_165:
	s_or_b32 exec_lo, exec_lo, s0
	s_and_saveexec_b32 s0, s15
	s_cbranch_execnz .LBB0_189
.LBB0_166:
	s_or_b32 exec_lo, exec_lo, s0
	s_and_saveexec_b32 s0, s16
	s_cbranch_execnz .LBB0_190
.LBB0_167:
	s_or_b32 exec_lo, exec_lo, s0
	s_and_saveexec_b32 s0, s17
	s_cbranch_execnz .LBB0_191
.LBB0_168:
	s_or_b32 exec_lo, exec_lo, s0
	s_and_saveexec_b32 s0, s18
	s_cbranch_execnz .LBB0_192
.LBB0_169:
	s_or_b32 exec_lo, exec_lo, s0
	s_and_saveexec_b32 s0, s19
	s_cbranch_execnz .LBB0_193
.LBB0_170:
	s_or_b32 exec_lo, exec_lo, s0
	s_and_saveexec_b32 s0, s20
	s_cbranch_execnz .LBB0_194
.LBB0_171:
	s_or_b32 exec_lo, exec_lo, s0
	s_and_saveexec_b32 s0, s21
	s_cbranch_execnz .LBB0_195
.LBB0_172:
	s_or_b32 exec_lo, exec_lo, s0
	s_and_saveexec_b32 s0, s22
	s_cbranch_execz .LBB0_1
	s_branch .LBB0_196
.LBB0_173:
	s_wait_dscnt 0x5
	global_store_b32 v33, v21, s[38:39]
	s_or_b32 exec_lo, exec_lo, s23
	s_and_saveexec_b32 s23, s0
	s_cbranch_execz .LBB0_151
.LBB0_174:
	s_wait_dscnt 0x5
	global_store_b32 v33, v22, s[38:39] offset:4
	s_or_b32 exec_lo, exec_lo, s23
	s_and_saveexec_b32 s0, s1
	s_cbranch_execz .LBB0_152
.LBB0_175:
	s_wait_dscnt 0x5
	global_store_b32 v33, v23, s[38:39] offset:8
	s_or_b32 exec_lo, exec_lo, s0
	s_and_saveexec_b32 s0, s2
	s_cbranch_execz .LBB0_153
.LBB0_176:
	s_wait_dscnt 0x5
	global_store_b32 v33, v24, s[38:39] offset:12
	s_or_b32 exec_lo, exec_lo, s0
	s_and_saveexec_b32 s0, s3
	s_cbranch_execz .LBB0_154
.LBB0_177:
	s_wait_dscnt 0x4
	global_store_b32 v33, v17, s[38:39] offset:16
	s_or_b32 exec_lo, exec_lo, s0
	s_and_saveexec_b32 s0, s4
	s_cbranch_execz .LBB0_155
.LBB0_178:
	s_wait_dscnt 0x4
	global_store_b32 v33, v18, s[38:39] offset:20
	s_or_b32 exec_lo, exec_lo, s0
	s_and_saveexec_b32 s0, s5
	s_cbranch_execz .LBB0_156
.LBB0_179:
	s_wait_dscnt 0x4
	global_store_b32 v33, v19, s[38:39] offset:24
	s_or_b32 exec_lo, exec_lo, s0
	s_and_saveexec_b32 s0, s6
	s_cbranch_execz .LBB0_157
.LBB0_180:
	s_wait_dscnt 0x4
	global_store_b32 v33, v20, s[38:39] offset:28
	s_or_b32 exec_lo, exec_lo, s0
	s_and_saveexec_b32 s0, s7
	s_cbranch_execz .LBB0_158
.LBB0_181:
	s_wait_dscnt 0x3
	global_store_b32 v33, v13, s[38:39] offset:32
	s_or_b32 exec_lo, exec_lo, s0
	s_and_saveexec_b32 s0, s8
	s_cbranch_execz .LBB0_159
.LBB0_182:
	s_wait_dscnt 0x3
	global_store_b32 v33, v14, s[38:39] offset:36
	s_or_b32 exec_lo, exec_lo, s0
	s_and_saveexec_b32 s0, s9
	s_cbranch_execz .LBB0_160
.LBB0_183:
	s_wait_dscnt 0x3
	global_store_b32 v33, v15, s[38:39] offset:40
	s_or_b32 exec_lo, exec_lo, s0
	s_and_saveexec_b32 s0, s10
	s_cbranch_execz .LBB0_161
.LBB0_184:
	s_wait_dscnt 0x3
	global_store_b32 v33, v16, s[38:39] offset:44
	s_or_b32 exec_lo, exec_lo, s0
	s_and_saveexec_b32 s0, s11
	s_cbranch_execz .LBB0_162
.LBB0_185:
	s_wait_dscnt 0x2
	global_store_b32 v33, v9, s[38:39] offset:48
	s_or_b32 exec_lo, exec_lo, s0
	s_and_saveexec_b32 s0, s12
	s_cbranch_execz .LBB0_163
.LBB0_186:
	s_wait_dscnt 0x2
	global_store_b32 v33, v10, s[38:39] offset:52
	s_or_b32 exec_lo, exec_lo, s0
	s_and_saveexec_b32 s0, s13
	s_cbranch_execz .LBB0_164
.LBB0_187:
	s_wait_dscnt 0x2
	global_store_b32 v33, v11, s[38:39] offset:56
	s_or_b32 exec_lo, exec_lo, s0
	s_and_saveexec_b32 s0, s14
	s_cbranch_execz .LBB0_165
.LBB0_188:
	s_wait_dscnt 0x2
	global_store_b32 v33, v12, s[38:39] offset:60
	s_or_b32 exec_lo, exec_lo, s0
	s_and_saveexec_b32 s0, s15
	s_cbranch_execz .LBB0_166
.LBB0_189:
	s_wait_dscnt 0x1
	global_store_b32 v33, v5, s[38:39] offset:64
	s_or_b32 exec_lo, exec_lo, s0
	s_and_saveexec_b32 s0, s16
	s_cbranch_execz .LBB0_167
.LBB0_190:
	s_wait_dscnt 0x1
	global_store_b32 v33, v6, s[38:39] offset:68
	s_or_b32 exec_lo, exec_lo, s0
	s_and_saveexec_b32 s0, s17
	s_cbranch_execz .LBB0_168
.LBB0_191:
	s_wait_dscnt 0x1
	global_store_b32 v33, v7, s[38:39] offset:72
	s_or_b32 exec_lo, exec_lo, s0
	s_and_saveexec_b32 s0, s18
	s_cbranch_execz .LBB0_169
.LBB0_192:
	s_wait_dscnt 0x1
	global_store_b32 v33, v8, s[38:39] offset:76
	s_or_b32 exec_lo, exec_lo, s0
	s_and_saveexec_b32 s0, s19
	s_cbranch_execz .LBB0_170
.LBB0_193:
	s_wait_dscnt 0x0
	global_store_b32 v33, v1, s[38:39] offset:80
	s_or_b32 exec_lo, exec_lo, s0
	s_and_saveexec_b32 s0, s20
	s_cbranch_execz .LBB0_171
.LBB0_194:
	s_wait_dscnt 0x0
	global_store_b32 v33, v2, s[38:39] offset:84
	s_or_b32 exec_lo, exec_lo, s0
	s_and_saveexec_b32 s0, s21
	s_cbranch_execz .LBB0_172
.LBB0_195:
	s_wait_dscnt 0x0
	global_store_b32 v33, v3, s[38:39] offset:88
	s_or_b32 exec_lo, exec_lo, s0
	s_and_saveexec_b32 s0, s22
	s_cbranch_execz .LBB0_1
.LBB0_196:
	s_wait_dscnt 0x0
	global_store_b32 v33, v4, s[38:39] offset:92
	s_nop 0
	s_sendmsg sendmsg(MSG_DEALLOC_VGPRS)
	s_endpgm
	.section	.rodata,"a",@progbits
	.p2align	6, 0x0
	.amdhsa_kernel SortSinglePassKernel
		.amdhsa_group_segment_fixed_size 17456
		.amdhsa_private_segment_fixed_size 0
		.amdhsa_kernarg_size 28
		.amdhsa_user_sgpr_count 2
		.amdhsa_user_sgpr_dispatch_ptr 0
		.amdhsa_user_sgpr_queue_ptr 0
		.amdhsa_user_sgpr_kernarg_segment_ptr 1
		.amdhsa_user_sgpr_dispatch_id 0
		.amdhsa_user_sgpr_private_segment_size 0
		.amdhsa_wavefront_size32 1
		.amdhsa_uses_dynamic_stack 0
		.amdhsa_enable_private_segment 0
		.amdhsa_system_sgpr_workgroup_id_x 1
		.amdhsa_system_sgpr_workgroup_id_y 0
		.amdhsa_system_sgpr_workgroup_id_z 0
		.amdhsa_system_sgpr_workgroup_info 0
		.amdhsa_system_vgpr_workitem_id 0
		.amdhsa_next_free_vgpr 132
		.amdhsa_next_free_sgpr 43
		.amdhsa_reserve_vcc 1
		.amdhsa_float_round_mode_32 0
		.amdhsa_float_round_mode_16_64 0
		.amdhsa_float_denorm_mode_32 3
		.amdhsa_float_denorm_mode_16_64 3
		.amdhsa_fp16_overflow 0
		.amdhsa_workgroup_processor_mode 1
		.amdhsa_memory_ordered 1
		.amdhsa_forward_progress 1
		.amdhsa_inst_pref_size 111
		.amdhsa_round_robin_scheduling 0
		.amdhsa_exception_fp_ieee_invalid_op 0
		.amdhsa_exception_fp_denorm_src 0
		.amdhsa_exception_fp_ieee_div_zero 0
		.amdhsa_exception_fp_ieee_overflow 0
		.amdhsa_exception_fp_ieee_underflow 0
		.amdhsa_exception_fp_ieee_inexact 0
		.amdhsa_exception_int_div_zero 0
	.end_amdhsa_kernel
	.text
.Lfunc_end0:
	.size	SortSinglePassKernel, .Lfunc_end0-SortSinglePassKernel
                                        ; -- End function
	.set SortSinglePassKernel.num_vgpr, 132
	.set SortSinglePassKernel.num_agpr, 0
	.set SortSinglePassKernel.numbered_sgpr, 43
	.set SortSinglePassKernel.num_named_barrier, 0
	.set SortSinglePassKernel.private_seg_size, 0
	.set SortSinglePassKernel.uses_vcc, 1
	.set SortSinglePassKernel.uses_flat_scratch, 0
	.set SortSinglePassKernel.has_dyn_sized_stack, 0
	.set SortSinglePassKernel.has_recursion, 0
	.set SortSinglePassKernel.has_indirect_call, 0
	.section	.AMDGPU.csdata,"",@progbits
; Kernel info:
; codeLenInByte = 14192
; TotalNumSgprs: 45
; NumVgprs: 132
; ScratchSize: 0
; MemoryBound: 0
; FloatMode: 240
; IeeeMode: 1
; LDSByteSize: 17456 bytes/workgroup (compile time only)
; SGPRBlocks: 0
; VGPRBlocks: 16
; NumSGPRsForWavesPerEU: 45
; NumVGPRsForWavesPerEU: 132
; Occupancy: 10
; WaveLimiterHint : 0
; COMPUTE_PGM_RSRC2:SCRATCH_EN: 0
; COMPUTE_PGM_RSRC2:USER_SGPR: 2
; COMPUTE_PGM_RSRC2:TRAP_HANDLER: 0
; COMPUTE_PGM_RSRC2:TGID_X_EN: 1
; COMPUTE_PGM_RSRC2:TGID_Y_EN: 0
; COMPUTE_PGM_RSRC2:TGID_Z_EN: 0
; COMPUTE_PGM_RSRC2:TIDIG_COMP_CNT: 0
	.text
	.protected	SortSinglePassKVKernel  ; -- Begin function SortSinglePassKVKernel
	.globl	SortSinglePassKVKernel
	.p2align	8
	.type	SortSinglePassKVKernel,@function
SortSinglePassKVKernel:                 ; @SortSinglePassKVKernel
; %bb.0:
	s_cmp_lg_u32 ttmp9, 0
	s_cbranch_scc0 .LBB1_2
.LBB1_1:
	s_nop 0
	s_sendmsg sendmsg(MSG_DEALLOC_VGPRS)
	s_endpgm
.LBB1_2:
	s_clause 0x1
	s_load_b96 s[44:46], s[0:1], 0x20
	s_load_b256 s[36:43], s[0:1], 0x0
	v_mul_u32_u24_e32 v48, 24, v0
	v_dual_mov_b32 v2, -1 :: v_dual_mov_b32 v1, -1
	v_mov_b32_e32 v5, -1
	s_delay_alu instid0(VALU_DEP_3)
	v_lshlrev_b32_e32 v57, 2, v48
	s_wait_kmcnt 0x0
	v_cmp_gt_i32_e32 vcc_lo, s44, v48
	s_and_saveexec_b32 s0, vcc_lo
	s_cbranch_execz .LBB1_4
; %bb.3:
	s_clause 0x1
	global_load_b32 v1, v57, s[36:37]
	global_load_b32 v5, v57, s[38:39]
.LBB1_4:
	s_or_b32 exec_lo, exec_lo, s0
	v_or_b32_e32 v3, 1, v48
	v_add_nc_u32_e32 v58, 0x3000, v57
	v_mov_b32_e32 v6, -1
	s_wait_loadcnt 0x0
	ds_store_2addr_stride64_b32 v57, v1, v5 offset1:48
	v_cmp_gt_i32_e64 s0, s44, v3
	s_and_saveexec_b32 s1, s0
	s_cbranch_execz .LBB1_6
; %bb.5:
	s_clause 0x1
	global_load_b32 v2, v57, s[36:37] offset:4
	global_load_b32 v6, v57, s[38:39] offset:4
.LBB1_6:
	s_or_b32 exec_lo, exec_lo, s1
	v_or_b32_e32 v7, 2, v48
	v_dual_mov_b32 v4, -1 :: v_dual_mov_b32 v3, -1
	s_wait_loadcnt 0x1
	ds_store_b32 v57, v2 offset:4
	s_wait_loadcnt 0x0
	ds_store_b32 v58, v6 offset:4
	v_cmp_gt_i32_e64 s1, s44, v7
	v_mov_b32_e32 v7, -1
	s_and_saveexec_b32 s2, s1
	s_cbranch_execz .LBB1_8
; %bb.7:
	s_clause 0x1
	global_load_b32 v3, v57, s[36:37] offset:8
	global_load_b32 v7, v57, s[38:39] offset:8
.LBB1_8:
	s_or_b32 exec_lo, exec_lo, s2
	v_or_b32_e32 v8, 3, v48
	s_wait_loadcnt 0x1
	ds_store_b32 v57, v3 offset:8
	s_wait_loadcnt 0x0
	ds_store_b32 v58, v7 offset:8
	v_cmp_gt_i32_e64 s2, s44, v8
	v_mov_b32_e32 v8, -1
	s_and_saveexec_b32 s3, s2
	s_cbranch_execz .LBB1_10
; %bb.9:
	s_clause 0x1
	global_load_b32 v4, v57, s[36:37] offset:12
	global_load_b32 v8, v57, s[38:39] offset:12
.LBB1_10:
	s_or_b32 exec_lo, exec_lo, s3
	v_or_b32_e32 v11, 4, v48
	v_dual_mov_b32 v10, -1 :: v_dual_mov_b32 v9, -1
	v_mov_b32_e32 v13, -1
	s_wait_loadcnt 0x1
	ds_store_b32 v57, v4 offset:12
	s_wait_loadcnt 0x0
	ds_store_b32 v58, v8 offset:12
	v_cmp_gt_i32_e64 s3, s44, v11
	s_and_saveexec_b32 s4, s3
	s_cbranch_execz .LBB1_12
; %bb.11:
	s_clause 0x1
	global_load_b32 v9, v57, s[36:37] offset:16
	global_load_b32 v13, v57, s[38:39] offset:16
.LBB1_12:
	s_or_b32 exec_lo, exec_lo, s4
	v_or_b32_e32 v11, 5, v48
	v_mov_b32_e32 v14, -1
	s_wait_loadcnt 0x1
	ds_store_b32 v57, v9 offset:16
	s_wait_loadcnt 0x0
	ds_store_b32 v58, v13 offset:16
	v_cmp_gt_i32_e64 s4, s44, v11
	s_and_saveexec_b32 s5, s4
	s_cbranch_execz .LBB1_14
; %bb.13:
	s_clause 0x1
	global_load_b32 v10, v57, s[36:37] offset:20
	global_load_b32 v14, v57, s[38:39] offset:20
.LBB1_14:
	s_or_b32 exec_lo, exec_lo, s5
	v_or_b32_e32 v15, 6, v48
	v_dual_mov_b32 v12, -1 :: v_dual_mov_b32 v11, -1
	s_wait_loadcnt 0x1
	ds_store_b32 v57, v10 offset:20
	s_wait_loadcnt 0x0
	ds_store_b32 v58, v14 offset:20
	v_cmp_gt_i32_e64 s5, s44, v15
	v_mov_b32_e32 v15, -1
	s_and_saveexec_b32 s6, s5
	s_cbranch_execz .LBB1_16
; %bb.15:
	s_clause 0x1
	global_load_b32 v11, v57, s[36:37] offset:24
	global_load_b32 v15, v57, s[38:39] offset:24
.LBB1_16:
	s_or_b32 exec_lo, exec_lo, s6
	v_or_b32_e32 v16, 7, v48
	s_wait_loadcnt 0x1
	ds_store_b32 v57, v11 offset:24
	s_wait_loadcnt 0x0
	ds_store_b32 v58, v15 offset:24
	v_cmp_gt_i32_e64 s6, s44, v16
	v_mov_b32_e32 v16, -1
	s_and_saveexec_b32 s7, s6
	s_cbranch_execz .LBB1_18
; %bb.17:
	s_clause 0x1
	global_load_b32 v12, v57, s[36:37] offset:28
	global_load_b32 v16, v57, s[38:39] offset:28
.LBB1_18:
	s_or_b32 exec_lo, exec_lo, s7
	v_dual_mov_b32 v18, -1 :: v_dual_add_nc_u32 v19, 8, v48
	v_mov_b32_e32 v17, -1
	v_mov_b32_e32 v21, -1
	s_wait_loadcnt 0x1
	ds_store_b32 v57, v12 offset:28
	s_wait_loadcnt 0x0
	ds_store_b32 v58, v16 offset:28
	v_cmp_gt_i32_e64 s7, s44, v19
	s_and_saveexec_b32 s8, s7
	s_cbranch_execz .LBB1_20
; %bb.19:
	s_clause 0x1
	global_load_b32 v17, v57, s[36:37] offset:32
	global_load_b32 v21, v57, s[38:39] offset:32
.LBB1_20:
	s_or_b32 exec_lo, exec_lo, s8
	v_dual_mov_b32 v22, -1 :: v_dual_add_nc_u32 v19, 9, v48
	s_wait_loadcnt 0x1
	ds_store_b32 v57, v17 offset:32
	s_wait_loadcnt 0x0
	ds_store_b32 v58, v21 offset:32
	v_cmp_gt_i32_e64 s8, s44, v19
	s_and_saveexec_b32 s9, s8
	s_cbranch_execz .LBB1_22
; %bb.21:
	s_clause 0x1
	global_load_b32 v18, v57, s[36:37] offset:36
	global_load_b32 v22, v57, s[38:39] offset:36
.LBB1_22:
	s_or_b32 exec_lo, exec_lo, s9
	v_dual_mov_b32 v20, -1 :: v_dual_add_nc_u32 v23, 10, v48
	v_mov_b32_e32 v19, -1
	s_wait_loadcnt 0x1
	ds_store_b32 v57, v18 offset:36
	s_wait_loadcnt 0x0
	ds_store_b32 v58, v22 offset:36
	v_cmp_gt_i32_e64 s9, s44, v23
	v_mov_b32_e32 v23, -1
	s_and_saveexec_b32 s10, s9
	s_cbranch_execz .LBB1_24
; %bb.23:
	s_clause 0x1
	global_load_b32 v19, v57, s[36:37] offset:40
	global_load_b32 v23, v57, s[38:39] offset:40
.LBB1_24:
	s_or_b32 exec_lo, exec_lo, s10
	v_add_nc_u32_e32 v24, 11, v48
	s_wait_loadcnt 0x1
	ds_store_b32 v57, v19 offset:40
	s_wait_loadcnt 0x0
	ds_store_b32 v58, v23 offset:40
	v_cmp_gt_i32_e64 s10, s44, v24
	v_mov_b32_e32 v24, -1
	s_and_saveexec_b32 s11, s10
	s_cbranch_execz .LBB1_26
; %bb.25:
	s_clause 0x1
	global_load_b32 v20, v57, s[36:37] offset:44
	global_load_b32 v24, v57, s[38:39] offset:44
.LBB1_26:
	s_or_b32 exec_lo, exec_lo, s11
	v_dual_mov_b32 v26, -1 :: v_dual_add_nc_u32 v27, 12, v48
	v_mov_b32_e32 v25, -1
	v_mov_b32_e32 v29, -1
	s_wait_loadcnt 0x1
	ds_store_b32 v57, v20 offset:44
	s_wait_loadcnt 0x0
	ds_store_b32 v58, v24 offset:44
	v_cmp_gt_i32_e64 s11, s44, v27
	s_and_saveexec_b32 s12, s11
	s_cbranch_execz .LBB1_28
; %bb.27:
	s_clause 0x1
	global_load_b32 v25, v57, s[36:37] offset:48
	global_load_b32 v29, v57, s[38:39] offset:48
.LBB1_28:
	s_or_b32 exec_lo, exec_lo, s12
	v_dual_mov_b32 v30, -1 :: v_dual_add_nc_u32 v27, 13, v48
	s_wait_loadcnt 0x1
	ds_store_b32 v57, v25 offset:48
	s_wait_loadcnt 0x0
	ds_store_b32 v58, v29 offset:48
	v_cmp_gt_i32_e64 s12, s44, v27
	s_and_saveexec_b32 s13, s12
	s_cbranch_execz .LBB1_30
; %bb.29:
	s_clause 0x1
	global_load_b32 v26, v57, s[36:37] offset:52
	global_load_b32 v30, v57, s[38:39] offset:52
.LBB1_30:
	s_or_b32 exec_lo, exec_lo, s13
	v_dual_mov_b32 v28, -1 :: v_dual_add_nc_u32 v31, 14, v48
	v_mov_b32_e32 v27, -1
	s_wait_loadcnt 0x1
	ds_store_b32 v57, v26 offset:52
	s_wait_loadcnt 0x0
	ds_store_b32 v58, v30 offset:52
	v_cmp_gt_i32_e64 s13, s44, v31
	v_mov_b32_e32 v31, -1
	s_and_saveexec_b32 s14, s13
	s_cbranch_execz .LBB1_32
; %bb.31:
	s_clause 0x1
	global_load_b32 v27, v57, s[36:37] offset:56
	global_load_b32 v31, v57, s[38:39] offset:56
.LBB1_32:
	s_or_b32 exec_lo, exec_lo, s14
	v_add_nc_u32_e32 v32, 15, v48
	;; [unrolled: 61-line block ×4, first 2 shown]
	s_wait_loadcnt 0x1
	ds_store_b32 v57, v43 offset:88
	s_wait_loadcnt 0x0
	ds_store_b32 v58, v47 offset:88
	v_cmp_gt_i32_e64 s22, s44, v48
	v_mov_b32_e32 v48, -1
	s_and_saveexec_b32 s23, s22
	s_cbranch_execz .LBB1_50
; %bb.49:
	s_clause 0x1
	global_load_b32 v44, v57, s[36:37] offset:92
	global_load_b32 v48, v57, s[38:39] offset:92
.LBB1_50:
	s_or_b32 exec_lo, exec_lo, s23
	s_cmp_lt_i32 s45, s46
	s_wait_loadcnt 0x1
	ds_store_b32 v57, v44 offset:92
	s_wait_loadcnt 0x0
	ds_store_b32 v58, v48 offset:92
	s_wait_dscnt 0x0
	s_barrier_signal -1
	s_barrier_wait -1
	global_inv scope:SCOPE_SE
	s_cbranch_scc0 .LBB1_149
; %bb.51:
	v_lshlrev_b32_e32 v50, 1, v0
	s_mov_b32 s30, 0
	v_lshl_add_u32 v59, v0, 5, 0x6000
	s_mov_b32 s31, s30
	v_lshlrev_b32_e32 v49, 3, v0
	v_or_b32_e32 v51, 1, v50
	s_mov_b32 s34, s30
	s_mov_b32 s35, s30
	v_cmp_gt_u32_e64 s23, 64, v0
	v_cmp_gt_u32_e64 s24, 32, v0
	v_lshlrev_b32_e32 v62, 4, v51
	v_lshlrev_b32_e32 v64, 5, v51
	;; [unrolled: 1-line block ×5, first 2 shown]
	v_dual_mov_b32 v54, s35 :: v_dual_lshlrev_b32 v71, 2, v51
	v_dual_mov_b32 v52, s31 :: v_dual_lshlrev_b32 v73, 3, v51
	v_dual_mov_b32 v51, s30 :: v_dual_add_nc_u32 v60, 0x7020, v49
	v_cmp_gt_u32_e64 s25, 16, v0
	v_cmp_gt_u32_e64 s26, 8, v0
	;; [unrolled: 1-line block ×4, first 2 shown]
	v_cmp_eq_u32_e64 s29, 0, v0
	v_mul_i32_i24_e32 v0, 0xffffffe4, v0
	v_add_nc_u32_e32 v75, v60, v49
	v_dual_mov_b32 v49, 0 :: v_dual_add_nc_u32 v50, 2, v50
	s_delay_alu instid0(VALU_DEP_3) | instskip(NEXT) | instid1(VALU_DEP_2)
	v_dual_mov_b32 v53, s34 :: v_dual_add_nc_u32 v76, v59, v0
	v_lshlrev_b32_e32 v61, 4, v50
	v_lshlrev_b32_e32 v63, 5, v50
	;; [unrolled: 1-line block ×7, first 2 shown]
	s_branch .LBB1_53
.LBB1_52:                               ;   in Loop: Header=BB1_53 Depth=1
	s_wait_alu 0xfffe
	s_or_b32 exec_lo, exec_lo, s30
	s_wait_loadcnt_dscnt 0x0
	s_barrier_signal -1
	s_barrier_wait -1
	global_inv scope:SCOPE_SE
	s_wait_loadcnt 0x0
	s_barrier_signal -1
	s_barrier_wait -1
	global_inv scope:SCOPE_SE
	s_wait_loadcnt 0x0
	s_barrier_signal -1
	s_barrier_wait -1
	global_inv scope:SCOPE_SE
	ds_load_u16 v50, v81
	v_lshl_or_b32 v55, v79, 3, v80
	v_lshl_or_b32 v79, v82, 3, v87
	;; [unrolled: 1-line block ×5, first 2 shown]
	ds_load_u16 v55, v55 offset:28672
	s_add_co_i32 s45, s45, 8
	s_wait_alu 0xfffe
	s_cmp_ge_i32 s45, s46
	s_wait_dscnt 0x1
	v_add_nc_u16 v56, v50, 1
	v_and_b32_e32 v50, 0xffff, v50
	ds_store_b16 v81, v56
	ds_load_u16 v56, v84
	ds_load_u16 v79, v79 offset:28672
	v_lshl_or_b32 v81, v83, 3, v89
	v_lshl_or_b32 v83, v86, 3, v94
	;; [unrolled: 1-line block ×5, first 2 shown]
	s_wait_dscnt 0x3
	v_add_lshl_u32 v50, v50, v55, 2
	v_lshl_or_b32 v120, v144, 3, v147
	ds_store_2addr_stride64_b32 v50, v0, v44 offset1:48
	s_wait_dscnt 0x2
	v_add_nc_u16 v80, v56, 1
	v_and_b32_e32 v56, 0xffff, v56
	ds_store_b16 v84, v80
	ds_load_u16 v80, v85
	ds_load_u16 v81, v81 offset:28672
	s_wait_dscnt 0x4
	v_add_lshl_u32 v56, v56, v79, 2
	ds_store_2addr_stride64_b32 v56, v1, v45 offset1:48
	s_wait_dscnt 0x2
	v_add_nc_u16 v82, v80, 1
	v_and_b32_e32 v0, 0xffff, v80
	ds_store_b16 v85, v82
	ds_load_u16 v82, v90
	ds_load_u16 v83, v83 offset:28672
	v_lshl_or_b32 v85, v88, 3, v96
	s_wait_dscnt 0x4
	v_add_lshl_u32 v0, v0, v81, 2
	s_wait_dscnt 0x1
	v_add_nc_u16 v84, v82, 1
	v_and_b32_e32 v44, 0xffff, v82
	ds_store_b16 v90, v84
	ds_load_u16 v84, v92
	ds_load_u16 v85, v85 offset:28672
	s_wait_dscnt 0x3
	v_add_lshl_u32 v44, v44, v83, 2
	s_wait_dscnt 0x1
	v_add_nc_u16 v86, v84, 1
	v_and_b32_e32 v50, 0xffff, v84
	ds_store_b16 v92, v86
	ds_load_u16 v86, v95
	ds_load_u16 v87, v87 offset:28672
	;; [unrolled: 8-line block ×3, first 2 shown]
	v_lshl_or_b32 v95, v103, 3, v111
	v_lshl_or_b32 v103, v115, 3, v123
	;; [unrolled: 1-line block ×4, first 2 shown]
	s_wait_dscnt 0x3
	v_add_lshl_u32 v1, v79, v87, 2
	s_wait_dscnt 0x1
	v_add_nc_u16 v90, v88, 1
	ds_store_b16 v97, v90
	ds_load_u16 v90, v102
	ds_load_u16 v91, v91 offset:28672
	v_lshl_or_b32 v97, v105, 3, v113
	v_lshl_or_b32 v105, v117, 3, v125
	;; [unrolled: 1-line block ×4, first 2 shown]
	s_wait_dscnt 0x1
	v_add_nc_u16 v92, v90, 1
	ds_store_b16 v102, v92
	ds_load_u16 v92, v104
	ds_load_u16 v93, v93 offset:28672
	s_wait_dscnt 0x1
	v_add_nc_u16 v94, v92, 1
	ds_store_b16 v104, v94
	ds_load_u16 v94, v107
	ds_load_u16 v95, v95 offset:28672
	;; [unrolled: 5-line block ×3, first 2 shown]
	v_lshl_or_b32 v107, v122, 3, v131
	s_wait_dscnt 0x1
	v_add_nc_u16 v98, v96, 1
	ds_store_b16 v109, v98
	ds_load_u16 v98, v114
	ds_load_u16 v99, v99 offset:28672
	v_lshl_or_b32 v109, v124, 3, v133
	s_wait_dscnt 0x1
	v_add_nc_u16 v100, v98, 1
	ds_store_b16 v114, v100
	ds_load_u16 v100, v116
	ds_load_u16 v101, v101 offset:28672
	s_wait_dscnt 0x1
	v_add_nc_u16 v102, v100, 1
	ds_store_b16 v116, v102
	ds_load_u16 v102, v119
	ds_load_u16 v103, v103 offset:28672
	s_wait_dscnt 0x1
	v_add_nc_u16 v104, v102, 1
	ds_store_b16 v119, v104
	ds_load_u16 v104, v121
	ds_load_u16 v105, v105 offset:28672
	v_lshl_or_b32 v119, v143, 3, v146
	s_wait_dscnt 0x1
	v_add_nc_u16 v106, v104, 1
	ds_store_b16 v121, v106
	ds_load_u16 v106, v126
	ds_load_u16 v107, v107 offset:28672
	s_wait_dscnt 0x1
	v_add_nc_u16 v108, v106, 1
	ds_store_b16 v126, v108
	ds_load_u16 v108, v129
	ds_load_u16 v109, v109 offset:28672
	;; [unrolled: 5-line block ×7, first 2 shown]
	ds_store_2addr_stride64_b32 v0, v2, v46 offset1:48
	ds_store_2addr_stride64_b32 v44, v3, v47 offset1:48
	ds_store_2addr_stride64_b32 v50, v4, v40 offset1:48
	v_lshl_or_b32 v119, v141, 3, v145
	ds_store_2addr_stride64_b32 v1, v5, v41 offset1:48
	v_and_b32_e32 v1, 0xffff, v88
	v_and_b32_e32 v2, 0xffff, v90
	;; [unrolled: 1-line block ×5, first 2 shown]
	v_add_lshl_u32 v1, v1, v89, 2
	v_add_lshl_u32 v2, v2, v91, 2
	;; [unrolled: 1-line block ×3, first 2 shown]
	s_wait_dscnt 0x5
	v_add_nc_u16 v0, v118, 1
	ds_store_b16 v78, v0
	ds_load_u16 v0, v119 offset:28672
	ds_load_u16 v4, v77
	ds_store_2addr_stride64_b32 v1, v6, v42 offset1:48
	ds_store_2addr_stride64_b32 v2, v7, v43 offset1:48
	;; [unrolled: 1-line block ×3, first 2 shown]
	v_add_lshl_u32 v1, v5, v95, 2
	v_and_b32_e32 v3, 0xffff, v98
	v_and_b32_e32 v6, 0xffff, v102
	v_add_lshl_u32 v2, v40, v97, 2
	v_and_b32_e32 v5, 0xffff, v100
	ds_store_2addr_stride64_b32 v1, v9, v37 offset1:48
	ds_store_2addr_stride64_b32 v2, v10, v38 offset1:48
	v_add_lshl_u32 v1, v3, v99, 2
	v_add_lshl_u32 v3, v6, v103, 2
	;; [unrolled: 1-line block ×3, first 2 shown]
	v_and_b32_e32 v5, 0xffff, v104
	ds_store_2addr_stride64_b32 v1, v11, v39 offset1:48
	ds_store_2addr_stride64_b32 v2, v12, v32 offset1:48
	;; [unrolled: 1-line block ×3, first 2 shown]
	v_and_b32_e32 v7, 0xffff, v110
	v_add_lshl_u32 v1, v5, v105, 2
	v_and_b32_e32 v5, 0xffff, v106
	s_wait_dscnt 0x8
	v_add_nc_u16 v6, v4, 1
	v_and_b32_e32 v8, 0xffff, v114
	v_add_lshl_u32 v7, v7, v111, 2
	v_and_b32_e32 v4, 0xffff, v4
	v_add_lshl_u32 v5, v5, v107, 2
	ds_store_b16 v77, v6
	ds_load_u16 v2, v120 offset:28672
	ds_load_u16 v3, v48
	v_and_b32_e32 v6, 0xffff, v108
	ds_store_2addr_stride64_b32 v1, v14, v34 offset1:48
	v_and_b32_e32 v1, 0xffff, v112
	v_add_lshl_u32 v0, v4, v0, 2
	v_add_lshl_u32 v6, v6, v109, 2
	ds_store_2addr_stride64_b32 v5, v15, v35 offset1:48
	ds_store_2addr_stride64_b32 v6, v16, v28 offset1:48
	ds_store_2addr_stride64_b32 v7, v17, v29 offset1:48
	v_add_lshl_u32 v1, v1, v113, 2
	v_add_lshl_u32 v5, v8, v115, 2
	v_and_b32_e32 v6, 0xffff, v118
	ds_store_2addr_stride64_b32 v1, v18, v30 offset1:48
	v_and_b32_e32 v1, 0xffff, v116
	ds_store_2addr_stride64_b32 v5, v19, v31 offset1:48
	v_add_lshl_u32 v6, v6, v55, 2
	s_wait_dscnt 0x6
	v_and_b32_e32 v5, 0xffff, v3
	v_add_nc_u16 v3, v3, 1
	v_add_lshl_u32 v1, v1, v117, 2
	s_delay_alu instid0(VALU_DEP_3)
	v_add_lshl_u32 v2, v5, v2, 2
	ds_store_2addr_stride64_b32 v1, v20, v24 offset1:48
	ds_store_2addr_stride64_b32 v6, v21, v25 offset1:48
	;; [unrolled: 1-line block ×3, first 2 shown]
	ds_store_b16 v48, v3
	ds_store_2addr_stride64_b32 v2, v23, v27 offset1:48
	s_wait_loadcnt_dscnt 0x0
	s_barrier_signal -1
	s_barrier_wait -1
	global_inv scope:SCOPE_SE
	ds_load_b128 v[1:4], v57
	ds_load_b128 v[9:12], v57 offset:16
	ds_load_b128 v[17:20], v57 offset:32
	;; [unrolled: 1-line block ×3, first 2 shown]
	ds_load_b128 v[5:8], v58
	ds_load_b128 v[13:16], v58 offset:16
	ds_load_b128 v[21:24], v58 offset:32
	;; [unrolled: 1-line block ×7, first 2 shown]
	s_cbranch_scc1 .LBB1_149
.LBB1_53:                               ; =>This Loop Header: Depth=1
                                        ;     Child Loop BB1_55 Depth 2
                                        ;     Child Loop BB1_103 Depth 2
	s_wait_dscnt 0xb
	v_ashrrev_i32_e32 v0, s45, v1
	ds_store_2addr_b64 v59, v[51:52], v[53:54] offset1:1
	ds_store_2addr_b64 v59, v[51:52], v[53:54] offset0:2 offset1:3
	s_mov_b32 s31, 0
	v_bfe_u32 v79, v0, 2, 2
	v_and_b32_e32 v0, 3, v0
	s_delay_alu instid0(VALU_DEP_2) | instskip(NEXT) | instid1(VALU_DEP_2)
	v_lshlrev_b32_e32 v50, 3, v79
	v_lshlrev_b32_e32 v85, 1, v0
	s_delay_alu instid0(VALU_DEP_1) | instskip(SKIP_4) | instid1(VALU_DEP_2)
	v_add3_u32 v80, v59, v50, v85
	v_ashrrev_i32_e32 v50, s45, v2
	ds_load_u16 v0, v80
	v_bfe_u32 v81, v50, 2, 2
	v_and_b32_e32 v50, 3, v50
	v_lshlrev_b32_e32 v55, 3, v81
	s_delay_alu instid0(VALU_DEP_2) | instskip(SKIP_1) | instid1(VALU_DEP_2)
	v_lshlrev_b32_e32 v88, 1, v50
	v_ashrrev_i32_e32 v50, s45, v3
	v_add3_u32 v83, v59, v55, v88
	s_delay_alu instid0(VALU_DEP_2) | instskip(SKIP_1) | instid1(VALU_DEP_2)
	v_bfe_u32 v82, v50, 2, 2
	v_and_b32_e32 v50, 3, v50
	v_lshlrev_b32_e32 v55, 3, v82
	s_delay_alu instid0(VALU_DEP_2) | instskip(SKIP_3) | instid1(VALU_DEP_3)
	v_lshlrev_b32_e32 v91, 1, v50
	s_wait_dscnt 0x0
	v_add_nc_u16 v0, v0, 1
	v_ashrrev_i32_e32 v50, s45, v4
	v_add3_u32 v86, v59, v55, v91
	ds_store_b16 v80, v0
	ds_load_u16 v0, v83
	v_bfe_u32 v84, v50, 2, 2
	v_and_b32_e32 v50, 3, v50
	s_delay_alu instid0(VALU_DEP_2) | instskip(NEXT) | instid1(VALU_DEP_2)
	v_lshlrev_b32_e32 v55, 3, v84
	v_lshlrev_b32_e32 v94, 1, v50
	v_ashrrev_i32_e32 v50, s45, v9
	s_delay_alu instid0(VALU_DEP_2) | instskip(NEXT) | instid1(VALU_DEP_2)
	v_add3_u32 v89, v59, v55, v94
	v_bfe_u32 v87, v50, 2, 2
	v_and_b32_e32 v50, 3, v50
	s_delay_alu instid0(VALU_DEP_2) | instskip(NEXT) | instid1(VALU_DEP_2)
	v_lshlrev_b32_e32 v55, 3, v87
	v_lshlrev_b32_e32 v97, 1, v50
	s_wait_dscnt 0x0
	v_add_nc_u16 v0, v0, 1
	v_ashrrev_i32_e32 v50, s45, v10
	s_delay_alu instid0(VALU_DEP_3) | instskip(SKIP_4) | instid1(VALU_DEP_2)
	v_add3_u32 v92, v59, v55, v97
	ds_store_b16 v83, v0
	ds_load_u16 v0, v86
	v_bfe_u32 v90, v50, 2, 2
	v_and_b32_e32 v50, 3, v50
	v_lshlrev_b32_e32 v55, 3, v90
	s_delay_alu instid0(VALU_DEP_2) | instskip(SKIP_1) | instid1(VALU_DEP_2)
	v_lshlrev_b32_e32 v100, 1, v50
	v_ashrrev_i32_e32 v50, s45, v11
	v_add3_u32 v95, v59, v55, v100
	s_delay_alu instid0(VALU_DEP_2) | instskip(SKIP_1) | instid1(VALU_DEP_2)
	v_bfe_u32 v93, v50, 2, 2
	v_and_b32_e32 v50, 3, v50
	v_lshlrev_b32_e32 v55, 3, v93
	s_delay_alu instid0(VALU_DEP_2) | instskip(SKIP_3) | instid1(VALU_DEP_3)
	v_lshlrev_b32_e32 v103, 1, v50
	s_wait_dscnt 0x0
	v_add_nc_u16 v0, v0, 1
	v_ashrrev_i32_e32 v50, s45, v12
	v_add3_u32 v98, v59, v55, v103
	ds_store_b16 v86, v0
	ds_load_u16 v0, v89
	v_bfe_u32 v96, v50, 2, 2
	v_and_b32_e32 v50, 3, v50
	s_delay_alu instid0(VALU_DEP_2) | instskip(NEXT) | instid1(VALU_DEP_2)
	v_lshlrev_b32_e32 v55, 3, v96
	v_lshlrev_b32_e32 v106, 1, v50
	v_ashrrev_i32_e32 v50, s45, v17
	s_delay_alu instid0(VALU_DEP_2) | instskip(NEXT) | instid1(VALU_DEP_2)
	v_add3_u32 v101, v59, v55, v106
	v_bfe_u32 v99, v50, 2, 2
	v_and_b32_e32 v50, 3, v50
	s_delay_alu instid0(VALU_DEP_2) | instskip(NEXT) | instid1(VALU_DEP_2)
	v_lshlrev_b32_e32 v55, 3, v99
	v_lshlrev_b32_e32 v109, 1, v50
	s_wait_dscnt 0x0
	v_add_nc_u16 v0, v0, 1
	v_ashrrev_i32_e32 v50, s45, v18
	s_delay_alu instid0(VALU_DEP_3) | instskip(SKIP_4) | instid1(VALU_DEP_2)
	v_add3_u32 v104, v59, v55, v109
	ds_store_b16 v89, v0
	;; [unrolled: 39-line block ×5, first 2 shown]
	ds_load_u16 v0, v110
	v_and_b32_e32 v55, 3, v50
	v_bfe_u32 v142, v50, 2, 2
	v_lshlrev_b32_e32 v144, 1, v55
	s_delay_alu instid0(VALU_DEP_2) | instskip(NEXT) | instid1(VALU_DEP_1)
	v_lshlrev_b32_e32 v50, 3, v142
	v_add3_u32 v78, v59, v50, v144
	v_ashrrev_i32_e32 v50, s45, v43
	s_delay_alu instid0(VALU_DEP_1) | instskip(SKIP_3) | instid1(VALU_DEP_3)
	v_and_b32_e32 v55, 3, v50
	v_bfe_u32 v143, v50, 2, 2
	s_wait_dscnt 0x0
	v_add_nc_u16 v0, v0, 1
	v_lshlrev_b32_e32 v145, 1, v55
	s_delay_alu instid0(VALU_DEP_3) | instskip(SKIP_4) | instid1(VALU_DEP_1)
	v_lshlrev_b32_e32 v50, 3, v143
	ds_store_b16 v110, v0
	ds_load_u16 v0, v113
	v_add3_u32 v77, v59, v50, v145
	v_ashrrev_i32_e32 v50, s45, v44
	v_and_b32_e32 v55, 3, v50
	v_bfe_u32 v146, v50, 2, 2
	s_delay_alu instid0(VALU_DEP_2) | instskip(NEXT) | instid1(VALU_DEP_2)
	v_lshlrev_b32_e32 v147, 1, v55
	v_lshlrev_b32_e32 v50, 3, v146
	s_wait_dscnt 0x0
	v_add_nc_u16 v0, v0, 1
	ds_store_b16 v113, v0
	ds_load_u16 v0, v116
	s_wait_dscnt 0x0
	v_add_nc_u16 v0, v0, 1
	ds_store_b16 v116, v0
	ds_load_u16 v0, v119
	;; [unrolled: 4-line block ×11, first 2 shown]
	s_wait_dscnt 0x0
	v_add_nc_u16 v55, v0, 1
	v_add3_u32 v0, v59, v50, v147
	ds_store_b16 v77, v55
	ds_load_u16 v50, v0
	s_wait_dscnt 0x0
	v_add_nc_u16 v50, v50, 1
	ds_store_b16 v0, v50
	s_wait_loadcnt_dscnt 0x0
	s_barrier_signal -1
	s_barrier_wait -1
	global_inv scope:SCOPE_SE
	s_branch .LBB1_55
.LBB1_54:                               ;   in Loop: Header=BB1_55 Depth=2
	s_wait_alu 0xfffe
	s_or_b32 exec_lo, exec_lo, s30
	s_add_co_i32 s31, s31, 8
	s_wait_alu 0xfffe
	s_cmp_eq_u32 s31, 32
	s_cbranch_scc1 .LBB1_85
.LBB1_55:                               ;   Parent Loop BB1_53 Depth=1
                                        ; =>  This Inner Loop Header: Depth=2
	s_wait_alu 0xfffe
	v_add_nc_u32_e32 v148, s31, v59
	ds_load_b64 v[55:56], v148
	s_wait_dscnt 0x0
	ds_store_b64 v60, v[55:56]
	s_wait_loadcnt_dscnt 0x0
	s_barrier_signal -1
	s_barrier_wait -1
	global_inv scope:SCOPE_SE
	s_and_saveexec_b32 s33, s23
	s_cbranch_execz .LBB1_57
; %bb.56:                               ;   in Loop: Header=BB1_55 Depth=2
	ds_load_b128 v[149:152], v75
	s_wait_dscnt 0x0
	v_add_co_u32 v55, s30, v151, v149
	s_wait_alu 0xf1ff
	v_add_co_ci_u32_e64 v56, null, v152, v150, s30
	ds_store_b64 v75, v[55:56] offset:8
.LBB1_57:                               ;   in Loop: Header=BB1_55 Depth=2
	s_or_b32 exec_lo, exec_lo, s33
	s_wait_loadcnt_dscnt 0x0
	s_barrier_signal -1
	s_barrier_wait -1
	global_inv scope:SCOPE_SE
	s_and_saveexec_b32 s33, s24
	s_cbranch_execz .LBB1_59
; %bb.58:                               ;   in Loop: Header=BB1_55 Depth=2
	ds_load_b64 v[55:56], v62 offset:28696
	ds_load_b64 v[149:150], v61 offset:28696
	s_wait_dscnt 0x0
	v_add_co_u32 v55, s30, v149, v55
	s_wait_alu 0xf1ff
	v_add_co_ci_u32_e64 v56, null, v150, v56, s30
	ds_store_b64 v61, v[55:56] offset:28696
.LBB1_59:                               ;   in Loop: Header=BB1_55 Depth=2
	s_or_b32 exec_lo, exec_lo, s33
	s_wait_loadcnt_dscnt 0x0
	s_barrier_signal -1
	s_barrier_wait -1
	global_inv scope:SCOPE_SE
	s_and_saveexec_b32 s33, s25
	s_cbranch_execz .LBB1_61
; %bb.60:                               ;   in Loop: Header=BB1_55 Depth=2
	ds_load_b64 v[55:56], v64 offset:28696
	ds_load_b64 v[149:150], v63 offset:28696
	s_wait_dscnt 0x0
	v_add_co_u32 v55, s30, v149, v55
	s_wait_alu 0xf1ff
	v_add_co_ci_u32_e64 v56, null, v150, v56, s30
	ds_store_b64 v63, v[55:56] offset:28696
.LBB1_61:                               ;   in Loop: Header=BB1_55 Depth=2
	;; [unrolled: 16-line block ×5, first 2 shown]
	s_or_b32 exec_lo, exec_lo, s33
	s_wait_loadcnt_dscnt 0x0
	s_barrier_signal -1
	s_barrier_wait -1
	global_inv scope:SCOPE_SE
	s_and_saveexec_b32 s33, s29
	s_cbranch_execz .LBB1_69
; %bb.68:                               ;   in Loop: Header=BB1_55 Depth=2
	v_add_nc_u32_e64 v50, 24, 0
	ds_load_2addr_stride64_b64 v[149:152], v50 offset0:57 offset1:58
	s_wait_dscnt 0x0
	v_add_co_u32 v55, s30, v151, v149
	s_wait_alu 0xf1ff
	v_add_co_ci_u32_e64 v56, null, v152, v150, s30
	ds_store_b64 v49, v[55:56] offset:29720
.LBB1_69:                               ;   in Loop: Header=BB1_55 Depth=2
	s_or_b32 exec_lo, exec_lo, s33
	s_wait_loadcnt_dscnt 0x0
	s_barrier_signal -1
	s_barrier_wait -1
	global_inv scope:SCOPE_SE
	s_wait_loadcnt 0x0
	s_barrier_signal -1
	s_barrier_wait -1
	global_inv scope:SCOPE_SE
	s_and_saveexec_b32 s33, s29
	s_cbranch_execz .LBB1_71
; %bb.70:                               ;   in Loop: Header=BB1_55 Depth=2
	ds_load_b64 v[55:56], v49 offset:29720
	v_mov_b32_e32 v50, v49
	v_add_nc_u32_e64 v153, 24, 0
	s_wait_dscnt 0x0
	ds_store_b64 v49, v[55:56] offset:29728
	s_wait_loadcnt_dscnt 0x0
	global_inv scope:SCOPE_SE
	ds_store_b64 v49, v[49:50] offset:29720
	s_wait_loadcnt_dscnt 0x0
	global_inv scope:SCOPE_SE
	ds_load_2addr_stride64_b64 v[149:152], v153 offset0:57 offset1:58
	s_wait_dscnt 0x0
	v_add_co_u32 v55, s30, v151, v149
	s_wait_alu 0xf1ff
	v_add_co_ci_u32_e64 v56, null, v152, v150, s30
	ds_store_2addr_stride64_b64 v153, v[151:152], v[55:56] offset0:57 offset1:58
.LBB1_71:                               ;   in Loop: Header=BB1_55 Depth=2
	s_or_b32 exec_lo, exec_lo, s33
	s_wait_loadcnt_dscnt 0x0
	s_barrier_signal -1
	s_barrier_wait -1
	global_inv scope:SCOPE_SE
	s_and_saveexec_b32 s33, s28
	s_cbranch_execz .LBB1_73
; %bb.72:                               ;   in Loop: Header=BB1_55 Depth=2
	ds_load_b64 v[55:56], v70 offset:28696
	ds_load_b64 v[149:150], v69 offset:28696
	s_wait_dscnt 0x0
	v_add_co_u32 v55, s30, v149, v55
	s_wait_alu 0xf1ff
	v_add_co_ci_u32_e64 v56, null, v150, v56, s30
	ds_store_b64 v70, v[149:150] offset:28696
	ds_store_b64 v69, v[55:56] offset:28696
.LBB1_73:                               ;   in Loop: Header=BB1_55 Depth=2
	s_or_b32 exec_lo, exec_lo, s33
	s_wait_loadcnt_dscnt 0x0
	s_barrier_signal -1
	s_barrier_wait -1
	global_inv scope:SCOPE_SE
	s_and_saveexec_b32 s33, s27
	s_cbranch_execz .LBB1_75
; %bb.74:                               ;   in Loop: Header=BB1_55 Depth=2
	ds_load_b64 v[55:56], v68 offset:28696
	ds_load_b64 v[149:150], v67 offset:28696
	s_wait_dscnt 0x0
	v_add_co_u32 v55, s30, v149, v55
	s_wait_alu 0xf1ff
	v_add_co_ci_u32_e64 v56, null, v150, v56, s30
	ds_store_b64 v68, v[149:150] offset:28696
	ds_store_b64 v67, v[55:56] offset:28696
.LBB1_75:                               ;   in Loop: Header=BB1_55 Depth=2
	;; [unrolled: 17-line block ×5, first 2 shown]
	s_or_b32 exec_lo, exec_lo, s33
	s_wait_loadcnt_dscnt 0x0
	s_barrier_signal -1
	s_barrier_wait -1
	global_inv scope:SCOPE_SE
	s_and_saveexec_b32 s33, s23
	s_cbranch_execz .LBB1_83
; %bb.82:                               ;   in Loop: Header=BB1_55 Depth=2
	ds_load_b128 v[149:152], v75
	s_wait_dscnt 0x0
	v_add_co_u32 v153, s30, v151, v149
	s_wait_alu 0xf1ff
	v_add_co_ci_u32_e64 v154, null, v152, v150, s30
	ds_store_b128 v75, v[151:154]
.LBB1_83:                               ;   in Loop: Header=BB1_55 Depth=2
	s_or_b32 exec_lo, exec_lo, s33
	s_wait_loadcnt_dscnt 0x0
	s_barrier_signal -1
	s_barrier_wait -1
	global_inv scope:SCOPE_SE
	s_wait_loadcnt 0x0
	s_barrier_signal -1
	s_barrier_wait -1
	global_inv scope:SCOPE_SE
	ds_load_b64 v[55:56], v49 offset:29728
	s_wait_loadcnt_dscnt 0x0
	s_barrier_signal -1
	s_barrier_wait -1
	global_inv scope:SCOPE_SE
	ds_load_b64 v[149:150], v60
	s_wait_dscnt 0x0
	ds_store_b64 v148, v[149:150]
	s_and_saveexec_b32 s30, s29
	s_cbranch_execz .LBB1_54
; %bb.84:                               ;   in Loop: Header=BB1_55 Depth=2
	v_mov_b32_e32 v50, s31
	ds_store_b64 v50, v[55:56] offset:28672
	s_branch .LBB1_54
.LBB1_85:                               ;   in Loop: Header=BB1_53 Depth=1
	s_wait_loadcnt_dscnt 0x0
	s_barrier_signal -1
	s_barrier_wait -1
	global_inv scope:SCOPE_SE
	s_and_saveexec_b32 s30, s26
	s_cbranch_execz .LBB1_87
; %bb.86:                               ;   in Loop: Header=BB1_53 Depth=1
	ds_load_b32 v50, v76 offset:4096
	s_wait_dscnt 0x0
	v_lshrrev_b32_e32 v55, 16, v50
	s_delay_alu instid0(VALU_DEP_1)
	v_add_nc_u16 v50, v55, v50
	ds_store_b16 v76, v50 offset:4098
.LBB1_87:                               ;   in Loop: Header=BB1_53 Depth=1
	s_wait_alu 0xfffe
	s_or_b32 exec_lo, exec_lo, s30
	s_wait_loadcnt_dscnt 0x0
	s_barrier_signal -1
	s_barrier_wait -1
	global_inv scope:SCOPE_SE
	s_and_saveexec_b32 s30, s27
	s_cbranch_execz .LBB1_89
; %bb.88:                               ;   in Loop: Header=BB1_53 Depth=1
	ds_load_u16 v50, v71 offset:28670
	ds_load_u16 v55, v72 offset:28670
	s_wait_dscnt 0x0
	v_add_nc_u16 v50, v55, v50
	ds_store_b16 v72, v50 offset:28670
.LBB1_89:                               ;   in Loop: Header=BB1_53 Depth=1
	s_wait_alu 0xfffe
	s_or_b32 exec_lo, exec_lo, s30
	s_wait_loadcnt_dscnt 0x0
	s_barrier_signal -1
	s_barrier_wait -1
	global_inv scope:SCOPE_SE
	s_and_saveexec_b32 s30, s28
	s_cbranch_execz .LBB1_91
; %bb.90:                               ;   in Loop: Header=BB1_53 Depth=1
	ds_load_u16 v50, v73 offset:28670
	ds_load_u16 v55, v74 offset:28670
	s_wait_dscnt 0x0
	v_add_nc_u16 v50, v55, v50
	ds_store_b16 v74, v50 offset:28670
.LBB1_91:                               ;   in Loop: Header=BB1_53 Depth=1
	s_wait_alu 0xfffe
	s_or_b32 exec_lo, exec_lo, s30
	s_wait_loadcnt_dscnt 0x0
	s_barrier_signal -1
	s_barrier_wait -1
	global_inv scope:SCOPE_SE
	s_and_saveexec_b32 s30, s29
	s_cbranch_execz .LBB1_93
; %bb.92:                               ;   in Loop: Header=BB1_53 Depth=1
	ds_load_u16 v50, v49 offset:28686
	ds_load_u16 v55, v49 offset:28702
	s_wait_dscnt 0x0
	v_add_nc_u32_e32 v50, v55, v50
	ds_store_b16 v49, v50 offset:28702
.LBB1_93:                               ;   in Loop: Header=BB1_53 Depth=1
	s_wait_alu 0xfffe
	s_or_b32 exec_lo, exec_lo, s30
	s_wait_loadcnt_dscnt 0x0
	s_barrier_signal -1
	s_barrier_wait -1
	global_inv scope:SCOPE_SE
	s_wait_loadcnt 0x0
	s_barrier_signal -1
	s_barrier_wait -1
	global_inv scope:SCOPE_SE
	s_and_saveexec_b32 s30, s29
	s_cbranch_execz .LBB1_95
; %bb.94:                               ;   in Loop: Header=BB1_53 Depth=1
	ds_load_u16 v50, v49 offset:28702
	s_wait_dscnt 0x0
	ds_store_b16 v49, v50 offset:29736
	s_wait_loadcnt_dscnt 0x0
	global_inv scope:SCOPE_SE
	ds_store_b16 v49, v49 offset:28702
	s_wait_loadcnt_dscnt 0x0
	global_inv scope:SCOPE_SE
	ds_load_u16 v50, v49 offset:28686
	ds_load_u16 v55, v49 offset:28702
	s_wait_dscnt 0x0
	v_add_nc_u32_e32 v50, v55, v50
	ds_store_b16 v49, v55 offset:28686
	ds_store_b16 v49, v50 offset:28702
.LBB1_95:                               ;   in Loop: Header=BB1_53 Depth=1
	s_wait_alu 0xfffe
	s_or_b32 exec_lo, exec_lo, s30
	s_wait_loadcnt_dscnt 0x0
	s_barrier_signal -1
	s_barrier_wait -1
	global_inv scope:SCOPE_SE
	s_and_saveexec_b32 s30, s28
	s_cbranch_execz .LBB1_97
; %bb.96:                               ;   in Loop: Header=BB1_53 Depth=1
	ds_load_u16 v50, v73 offset:28670
	ds_load_u16 v55, v74 offset:28670
	s_wait_dscnt 0x0
	v_add_nc_u16 v50, v55, v50
	ds_store_b16 v73, v55 offset:28670
	ds_store_b16 v74, v50 offset:28670
.LBB1_97:                               ;   in Loop: Header=BB1_53 Depth=1
	s_wait_alu 0xfffe
	s_or_b32 exec_lo, exec_lo, s30
	s_wait_loadcnt_dscnt 0x0
	s_barrier_signal -1
	s_barrier_wait -1
	global_inv scope:SCOPE_SE
	s_and_saveexec_b32 s30, s27
	s_cbranch_execz .LBB1_99
; %bb.98:                               ;   in Loop: Header=BB1_53 Depth=1
	ds_load_u16 v50, v71 offset:28670
	ds_load_u16 v55, v72 offset:28670
	s_wait_dscnt 0x0
	v_add_nc_u16 v50, v55, v50
	ds_store_b16 v71, v55 offset:28670
	ds_store_b16 v72, v50 offset:28670
.LBB1_99:                               ;   in Loop: Header=BB1_53 Depth=1
	s_wait_alu 0xfffe
	s_or_b32 exec_lo, exec_lo, s30
	s_wait_loadcnt_dscnt 0x0
	s_barrier_signal -1
	s_barrier_wait -1
	global_inv scope:SCOPE_SE
	s_and_saveexec_b32 s30, s26
	s_cbranch_execz .LBB1_101
; %bb.100:                              ;   in Loop: Header=BB1_53 Depth=1
	ds_load_b32 v50, v76 offset:4096
	s_wait_dscnt 0x0
	v_lshrrev_b32_e32 v55, 16, v50
	s_delay_alu instid0(VALU_DEP_1) | instskip(NEXT) | instid1(VALU_DEP_1)
	v_add_nc_u16 v55, v55, v50
	v_alignbit_b32 v50, v55, v50, 16
	ds_store_b32 v76, v50 offset:4096
.LBB1_101:                              ;   in Loop: Header=BB1_53 Depth=1
	s_wait_alu 0xfffe
	s_or_b32 exec_lo, exec_lo, s30
	s_wait_loadcnt_dscnt 0x0
	s_barrier_signal -1
	s_barrier_wait -1
	global_inv scope:SCOPE_SE
	s_wait_loadcnt 0x0
	s_barrier_signal -1
	s_barrier_wait -1
	global_inv scope:SCOPE_SE
	s_wait_loadcnt 0x0
	s_barrier_signal -1
	s_barrier_wait -1
	global_inv scope:SCOPE_SE
	ds_load_u16 v50, v80
	v_lshl_or_b32 v55, v79, 3, v85
	v_lshl_or_b32 v79, v81, 3, v88
	;; [unrolled: 1-line block ×5, first 2 shown]
	ds_load_u16 v55, v55 offset:28672
	v_lshl_or_b32 v91, v96, 3, v106
	v_lshl_or_b32 v97, v105, 3, v115
	;; [unrolled: 1-line block ×5, first 2 shown]
	s_mov_b32 s34, 0
	s_add_co_i32 s30, s45, 4
	s_wait_alu 0xfffe
	s_mov_b32 s35, s34
	s_mov_b32 s36, s34
	s_mov_b32 s37, s34
	s_wait_dscnt 0x1
	v_add_nc_u16 v56, v50, 1
	v_and_b32_e32 v50, 0xffff, v50
	ds_store_b16 v80, v56
	ds_load_u16 v56, v83
	ds_load_u16 v79, v79 offset:28672
	s_wait_dscnt 0x3
	v_add_lshl_u32 v50, v50, v55, 2
	ds_store_2addr_stride64_b32 v50, v1, v5 offset1:48
	s_wait_dscnt 0x2
	v_add_nc_u16 v80, v56, 1
	v_and_b32_e32 v56, 0xffff, v56
	ds_store_b16 v83, v80
	ds_load_u16 v80, v86
	ds_load_u16 v81, v81 offset:28672
	v_lshl_or_b32 v83, v84, 3, v94
	s_wait_dscnt 0x4
	v_add_lshl_u32 v56, v56, v79, 2
	ds_store_2addr_stride64_b32 v56, v2, v6 offset1:48
	s_wait_dscnt 0x2
	v_add_nc_u16 v82, v80, 1
	v_and_b32_e32 v1, 0xffff, v80
	ds_store_b16 v86, v82
	ds_load_u16 v82, v89
	ds_load_u16 v83, v83 offset:28672
	s_wait_dscnt 0x4
	v_add_lshl_u32 v1, v1, v81, 2
	s_wait_dscnt 0x1
	v_add_nc_u16 v84, v82, 1
	v_and_b32_e32 v5, 0xffff, v82
	ds_store_b16 v89, v84
	ds_load_u16 v84, v92
	ds_load_u16 v85, v85 offset:28672
	v_lshl_or_b32 v89, v93, 3, v103
	v_lshl_or_b32 v93, v99, 3, v109
	;; [unrolled: 1-line block ×5, first 2 shown]
	s_wait_dscnt 0x3
	v_add_lshl_u32 v5, v5, v83, 2
	s_wait_dscnt 0x1
	v_add_nc_u16 v86, v84, 1
	v_and_b32_e32 v50, 0xffff, v84
	ds_store_b16 v92, v86
	ds_load_u16 v86, v95
	ds_load_u16 v87, v87 offset:28672
	s_wait_dscnt 0x3
	v_add_lshl_u32 v50, v50, v85, 2
	s_wait_dscnt 0x1
	v_add_nc_u16 v88, v86, 1
	v_and_b32_e32 v79, 0xffff, v86
	ds_store_b16 v95, v88
	ds_load_u16 v88, v98
	ds_load_u16 v89, v89 offset:28672
	v_lshl_or_b32 v95, v102, 3, v112
	s_wait_dscnt 0x3
	v_add_lshl_u32 v2, v79, v87, 2
	s_wait_dscnt 0x1
	v_add_nc_u16 v90, v88, 1
	ds_store_b16 v98, v90
	ds_load_u16 v90, v101
	ds_load_u16 v91, v91 offset:28672
	s_wait_dscnt 0x1
	v_add_nc_u16 v92, v90, 1
	ds_store_b16 v101, v92
	ds_load_u16 v92, v104
	ds_load_u16 v93, v93 offset:28672
	v_lshl_or_b32 v101, v111, 3, v121
	v_lshl_or_b32 v111, v126, 3, v136
	s_wait_dscnt 0x1
	v_add_nc_u16 v94, v92, 1
	ds_store_b16 v104, v94
	ds_load_u16 v94, v107
	ds_load_u16 v95, v95 offset:28672
	s_wait_dscnt 0x1
	v_add_nc_u16 v96, v94, 1
	v_and_b32_e32 v6, 0xffff, v94
	ds_store_b16 v107, v96
	ds_load_u16 v96, v110
	ds_load_u16 v97, v97 offset:28672
	v_lshl_or_b32 v107, v120, 3, v131
	v_lshl_or_b32 v120, v146, 3, v147
	s_wait_dscnt 0x1
	v_add_nc_u16 v98, v96, 1
	ds_store_b16 v110, v98
	ds_load_u16 v98, v113
	ds_load_u16 v99, v99 offset:28672
	s_wait_dscnt 0x1
	v_add_nc_u16 v100, v98, 1
	ds_store_b16 v113, v100
	ds_load_u16 v100, v116
	ds_load_u16 v101, v101 offset:28672
	v_lshl_or_b32 v113, v129, 3, v139
	s_wait_dscnt 0x1
	v_add_nc_u16 v102, v100, 1
	ds_store_b16 v116, v102
	ds_load_u16 v102, v119
	ds_load_u16 v103, v103 offset:28672
	s_wait_dscnt 0x1
	v_add_nc_u16 v104, v102, 1
	ds_store_b16 v119, v104
	ds_load_u16 v104, v122
	ds_load_u16 v105, v105 offset:28672
	;; [unrolled: 11-line block ×3, first 2 shown]
	s_wait_dscnt 0x1
	v_add_nc_u16 v110, v108, 1
	ds_store_b16 v128, v110
	ds_load_u16 v110, v132
	ds_load_u16 v111, v111 offset:28672
	s_wait_dscnt 0x1
	v_add_nc_u16 v112, v110, 1
	ds_store_b16 v132, v112
	ds_load_u16 v112, v135
	ds_load_u16 v113, v113 offset:28672
	s_wait_dscnt 0x1
	v_add_nc_u16 v114, v112, 1
	ds_store_b16 v135, v114
	ds_load_u16 v114, v137
	ds_load_u16 v115, v115 offset:28672
	s_wait_dscnt 0x1
	v_add_nc_u16 v116, v114, 1
	ds_store_b16 v137, v116
	ds_load_u16 v116, v130
	ds_load_u16 v117, v117 offset:28672
	s_wait_dscnt 0x1
	v_add_nc_u16 v118, v116, 1
	ds_store_b16 v130, v118
	ds_load_u16 v118, v78
	ds_load_u16 v55, v119 offset:28672
	ds_store_2addr_stride64_b32 v1, v3, v7 offset1:48
	ds_store_2addr_stride64_b32 v5, v4, v8 offset1:48
	;; [unrolled: 1-line block ×3, first 2 shown]
	v_lshl_or_b32 v119, v143, 3, v145
	ds_store_2addr_stride64_b32 v2, v10, v14 offset1:48
	v_and_b32_e32 v2, 0xffff, v88
	v_and_b32_e32 v3, 0xffff, v90
	;; [unrolled: 1-line block ×5, first 2 shown]
	v_add_lshl_u32 v2, v2, v89, 2
	v_add_lshl_u32 v3, v3, v91, 2
	;; [unrolled: 1-line block ×3, first 2 shown]
	v_and_b32_e32 v9, 0xffff, v114
	v_add_lshl_u32 v8, v8, v111, 2
	s_wait_dscnt 0x5
	v_add_nc_u16 v1, v118, 1
	ds_store_b16 v78, v1
	ds_load_u16 v1, v119 offset:28672
	ds_load_u16 v5, v77
	ds_store_2addr_stride64_b32 v2, v11, v15 offset1:48
	ds_store_2addr_stride64_b32 v3, v12, v16 offset1:48
	;; [unrolled: 1-line block ×3, first 2 shown]
	v_add_lshl_u32 v2, v6, v95, 2
	v_add_lshl_u32 v3, v7, v97, 2
	v_and_b32_e32 v4, 0xffff, v98
	v_and_b32_e32 v7, 0xffff, v102
	;; [unrolled: 1-line block ×3, first 2 shown]
	ds_store_2addr_stride64_b32 v2, v18, v22 offset1:48
	ds_store_2addr_stride64_b32 v3, v19, v23 offset1:48
	v_add_lshl_u32 v2, v4, v99, 2
	v_add_lshl_u32 v4, v7, v103, 2
	;; [unrolled: 1-line block ×3, first 2 shown]
	v_and_b32_e32 v6, 0xffff, v104
	ds_store_2addr_stride64_b32 v2, v20, v24 offset1:48
	ds_store_2addr_stride64_b32 v3, v25, v29 offset1:48
	;; [unrolled: 1-line block ×3, first 2 shown]
	v_add_lshl_u32 v2, v6, v105, 2
	v_and_b32_e32 v6, 0xffff, v106
	s_wait_dscnt 0x8
	v_add_nc_u16 v7, v5, 1
	v_and_b32_e32 v5, 0xffff, v5
	s_delay_alu instid0(VALU_DEP_3)
	v_add_lshl_u32 v6, v6, v107, 2
	ds_store_b16 v77, v7
	ds_load_u16 v3, v120 offset:28672
	ds_load_u16 v4, v0
	v_and_b32_e32 v7, 0xffff, v108
	ds_store_2addr_stride64_b32 v2, v27, v31 offset1:48
	v_and_b32_e32 v2, 0xffff, v112
	v_add_lshl_u32 v1, v5, v1, 2
	v_add_lshl_u32 v7, v7, v109, 2
	ds_store_2addr_stride64_b32 v6, v28, v32 offset1:48
	ds_store_2addr_stride64_b32 v7, v33, v37 offset1:48
	;; [unrolled: 1-line block ×3, first 2 shown]
	v_add_lshl_u32 v2, v2, v113, 2
	v_add_lshl_u32 v6, v9, v115, 2
	v_and_b32_e32 v7, 0xffff, v118
	ds_store_2addr_stride64_b32 v2, v35, v39 offset1:48
	v_and_b32_e32 v2, 0xffff, v116
	ds_store_2addr_stride64_b32 v6, v36, v40 offset1:48
	v_add_lshl_u32 v7, v7, v55, 2
	s_wait_dscnt 0x6
	v_and_b32_e32 v6, 0xffff, v4
	v_add_nc_u16 v4, v4, 1
	v_add_lshl_u32 v2, v2, v117, 2
	s_delay_alu instid0(VALU_DEP_3)
	v_add_lshl_u32 v3, v6, v3, 2
	ds_store_2addr_stride64_b32 v2, v41, v45 offset1:48
	ds_store_2addr_stride64_b32 v7, v42, v46 offset1:48
	;; [unrolled: 1-line block ×3, first 2 shown]
	ds_store_b16 v0, v4
	ds_store_2addr_stride64_b32 v3, v44, v48 offset1:48
	s_wait_loadcnt_dscnt 0x0
	s_barrier_signal -1
	s_barrier_wait -1
	global_inv scope:SCOPE_SE
	ds_load_b128 v[0:3], v57
	s_wait_alu 0xfffe
	v_dual_mov_b32 v6, s36 :: v_dual_mov_b32 v7, s37
	s_wait_dscnt 0x0
	v_ashrrev_i32_e32 v4, s30, v0
	v_ashrrev_i32_e32 v9, s30, v3
	s_delay_alu instid0(VALU_DEP_2) | instskip(SKIP_1) | instid1(VALU_DEP_3)
	v_bfe_u32 v79, v4, 2, 2
	v_and_b32_e32 v4, 3, v4
	v_bfe_u32 v86, v9, 2, 2
	v_and_b32_e32 v9, 3, v9
	s_delay_alu instid0(VALU_DEP_4) | instskip(NEXT) | instid1(VALU_DEP_4)
	v_lshlrev_b32_e32 v8, 3, v79
	v_lshlrev_b32_e32 v80, 1, v4
	v_dual_mov_b32 v4, s34 :: v_dual_mov_b32 v5, s35
	ds_store_2addr_b64 v59, v[4:5], v[6:7] offset1:1
	ds_store_2addr_b64 v59, v[4:5], v[6:7] offset0:2 offset1:3
	v_add3_u32 v81, v59, v8, v80
	v_ashrrev_i32_e32 v5, s30, v1
	v_lshlrev_b32_e32 v10, 3, v86
	v_lshlrev_b32_e32 v94, 1, v9
	ds_load_u16 v4, v81
	v_bfe_u32 v82, v5, 2, 2
	v_and_b32_e32 v5, 3, v5
	v_add3_u32 v90, v59, v10, v94
	s_delay_alu instid0(VALU_DEP_3) | instskip(NEXT) | instid1(VALU_DEP_3)
	v_lshlrev_b32_e32 v6, 3, v82
	v_lshlrev_b32_e32 v87, 1, v5
	v_ashrrev_i32_e32 v5, s30, v2
	s_delay_alu instid0(VALU_DEP_2) | instskip(NEXT) | instid1(VALU_DEP_2)
	v_add3_u32 v84, v59, v6, v87
	v_bfe_u32 v83, v5, 2, 2
	v_and_b32_e32 v5, 3, v5
	s_delay_alu instid0(VALU_DEP_2) | instskip(NEXT) | instid1(VALU_DEP_2)
	v_lshlrev_b32_e32 v6, 3, v83
	v_lshlrev_b32_e32 v89, 1, v5
	s_wait_dscnt 0x0
	v_add_nc_u16 v4, v4, 1
	s_delay_alu instid0(VALU_DEP_2)
	v_add3_u32 v85, v59, v6, v89
	ds_store_b16 v81, v4
	ds_load_u16 v4, v84
	s_wait_dscnt 0x0
	v_add_nc_u16 v4, v4, 1
	ds_store_b16 v84, v4
	ds_load_u16 v8, v85
	ds_load_b128 v[4:7], v57 offset:16
	s_wait_dscnt 0x1
	v_add_nc_u16 v8, v8, 1
	s_wait_dscnt 0x0
	v_ashrrev_i32_e32 v9, s30, v4
	v_ashrrev_i32_e32 v13, s30, v7
	ds_store_b16 v85, v8
	ds_load_u16 v8, v90
	v_bfe_u32 v88, v9, 2, 2
	v_and_b32_e32 v9, 3, v9
	v_bfe_u32 v98, v13, 2, 2
	v_and_b32_e32 v13, 3, v13
	s_delay_alu instid0(VALU_DEP_4) | instskip(NEXT) | instid1(VALU_DEP_4)
	v_lshlrev_b32_e32 v10, 3, v88
	v_lshlrev_b32_e32 v96, 1, v9
	v_ashrrev_i32_e32 v9, s30, v5
	v_lshlrev_b32_e32 v14, 3, v98
	v_lshlrev_b32_e32 v106, 1, v13
	s_delay_alu instid0(VALU_DEP_4) | instskip(NEXT) | instid1(VALU_DEP_4)
	v_add3_u32 v92, v59, v10, v96
	v_bfe_u32 v91, v9, 2, 2
	v_and_b32_e32 v9, 3, v9
	s_delay_alu instid0(VALU_DEP_4) | instskip(NEXT) | instid1(VALU_DEP_3)
	v_add3_u32 v102, v59, v14, v106
	v_lshlrev_b32_e32 v10, 3, v91
	s_delay_alu instid0(VALU_DEP_3) | instskip(SKIP_3) | instid1(VALU_DEP_3)
	v_lshlrev_b32_e32 v99, 1, v9
	s_wait_dscnt 0x0
	v_add_nc_u16 v8, v8, 1
	v_ashrrev_i32_e32 v9, s30, v6
	v_add3_u32 v95, v59, v10, v99
	ds_store_b16 v90, v8
	ds_load_u16 v8, v92
	v_bfe_u32 v93, v9, 2, 2
	v_and_b32_e32 v9, 3, v9
	s_delay_alu instid0(VALU_DEP_2) | instskip(NEXT) | instid1(VALU_DEP_2)
	v_lshlrev_b32_e32 v10, 3, v93
	v_lshlrev_b32_e32 v101, 1, v9
	s_delay_alu instid0(VALU_DEP_1)
	v_add3_u32 v97, v59, v10, v101
	s_wait_dscnt 0x0
	v_add_nc_u16 v8, v8, 1
	ds_store_b16 v92, v8
	ds_load_u16 v8, v95
	s_wait_dscnt 0x0
	v_add_nc_u16 v8, v8, 1
	ds_store_b16 v95, v8
	ds_load_u16 v12, v97
	ds_load_b128 v[8:11], v57 offset:32
	s_wait_dscnt 0x1
	v_add_nc_u16 v12, v12, 1
	s_wait_dscnt 0x0
	v_ashrrev_i32_e32 v13, s30, v8
	v_ashrrev_i32_e32 v17, s30, v11
	ds_store_b16 v97, v12
	ds_load_u16 v12, v102
	v_bfe_u32 v100, v13, 2, 2
	v_and_b32_e32 v13, 3, v13
	v_bfe_u32 v110, v17, 2, 2
	v_and_b32_e32 v17, 3, v17
	s_delay_alu instid0(VALU_DEP_4) | instskip(NEXT) | instid1(VALU_DEP_4)
	v_lshlrev_b32_e32 v14, 3, v100
	v_lshlrev_b32_e32 v108, 1, v13
	v_ashrrev_i32_e32 v13, s30, v9
	v_lshlrev_b32_e32 v18, 3, v110
	v_lshlrev_b32_e32 v118, 1, v17
	s_delay_alu instid0(VALU_DEP_4) | instskip(NEXT) | instid1(VALU_DEP_4)
	v_add3_u32 v104, v59, v14, v108
	v_bfe_u32 v103, v13, 2, 2
	v_and_b32_e32 v13, 3, v13
	s_delay_alu instid0(VALU_DEP_4) | instskip(NEXT) | instid1(VALU_DEP_3)
	v_add3_u32 v114, v59, v18, v118
	v_lshlrev_b32_e32 v14, 3, v103
	s_delay_alu instid0(VALU_DEP_3) | instskip(SKIP_3) | instid1(VALU_DEP_3)
	v_lshlrev_b32_e32 v111, 1, v13
	s_wait_dscnt 0x0
	v_add_nc_u16 v12, v12, 1
	v_ashrrev_i32_e32 v13, s30, v10
	v_add3_u32 v107, v59, v14, v111
	ds_store_b16 v102, v12
	ds_load_u16 v12, v104
	v_bfe_u32 v105, v13, 2, 2
	v_and_b32_e32 v13, 3, v13
	s_delay_alu instid0(VALU_DEP_2) | instskip(NEXT) | instid1(VALU_DEP_2)
	v_lshlrev_b32_e32 v14, 3, v105
	v_lshlrev_b32_e32 v113, 1, v13
	s_delay_alu instid0(VALU_DEP_1)
	v_add3_u32 v109, v59, v14, v113
	s_wait_dscnt 0x0
	v_add_nc_u16 v12, v12, 1
	;; [unrolled: 48-line block ×4, first 2 shown]
	ds_store_b16 v129, v20
	ds_load_u16 v20, v132
	s_wait_dscnt 0x0
	v_add_nc_u16 v20, v20, 1
	ds_store_b16 v132, v20
	ds_load_u16 v24, v134
	ds_load_b128 v[20:23], v57 offset:80
	s_wait_dscnt 0x1
	v_add_nc_u16 v24, v24, 1
	s_wait_dscnt 0x0
	v_ashrrev_i32_e32 v25, s30, v20
	ds_store_b16 v134, v24
	ds_load_u16 v24, v139
	v_bfe_u32 v137, v25, 2, 2
	v_and_b32_e32 v25, 3, v25
	s_delay_alu instid0(VALU_DEP_2) | instskip(NEXT) | instid1(VALU_DEP_2)
	v_lshlrev_b32_e32 v26, 3, v137
	v_lshlrev_b32_e32 v142, 1, v25
	v_ashrrev_i32_e32 v25, s30, v21
	s_delay_alu instid0(VALU_DEP_2) | instskip(NEXT) | instid1(VALU_DEP_2)
	v_add3_u32 v128, v59, v26, v142
	v_bfe_u32 v143, v25, 2, 2
	v_and_b32_e32 v25, 3, v25
	s_delay_alu instid0(VALU_DEP_2) | instskip(NEXT) | instid1(VALU_DEP_2)
	v_lshlrev_b32_e32 v26, 3, v143
	v_lshlrev_b32_e32 v146, 1, v25
	s_wait_dscnt 0x0
	v_add_nc_u16 v24, v24, 1
	v_ashrrev_i32_e32 v25, s30, v22
	s_delay_alu instid0(VALU_DEP_3) | instskip(SKIP_4) | instid1(VALU_DEP_2)
	v_add3_u32 v78, v59, v26, v146
	ds_store_b16 v139, v24
	ds_load_u16 v24, v128
	v_bfe_u32 v141, v25, 2, 2
	v_and_b32_e32 v25, 3, v25
	v_lshlrev_b32_e32 v26, 3, v141
	s_delay_alu instid0(VALU_DEP_2) | instskip(SKIP_1) | instid1(VALU_DEP_2)
	v_lshlrev_b32_e32 v145, 1, v25
	v_ashrrev_i32_e32 v25, s30, v23
	v_add3_u32 v77, v59, v26, v145
	s_delay_alu instid0(VALU_DEP_2) | instskip(SKIP_1) | instid1(VALU_DEP_2)
	v_bfe_u32 v144, v25, 2, 2
	v_and_b32_e32 v25, 3, v25
	v_lshlrev_b32_e32 v26, 3, v144
	s_delay_alu instid0(VALU_DEP_2) | instskip(SKIP_2) | instid1(VALU_DEP_2)
	v_lshlrev_b32_e32 v147, 1, v25
	s_wait_dscnt 0x0
	v_add_nc_u16 v24, v24, 1
	v_add3_u32 v48, v59, v26, v147
	ds_store_b16 v128, v24
	ds_load_u16 v24, v78
	s_wait_dscnt 0x0
	v_add_nc_u16 v24, v24, 1
	ds_store_b16 v78, v24
	ds_load_u16 v24, v77
	s_wait_dscnt 0x0
	v_add_nc_u16 v24, v24, 1
	ds_store_b16 v77, v24
	ds_load_u16 v50, v48
	ds_load_b128 v[44:47], v58
	ds_load_b128 v[40:43], v58 offset:16
	ds_load_b128 v[36:39], v58 offset:32
	ds_load_b128 v[32:35], v58 offset:48
	ds_load_b128 v[28:31], v58 offset:64
	ds_load_b128 v[24:27], v58 offset:80
	s_wait_dscnt 0x6
	v_add_nc_u16 v50, v50, 1
	ds_store_b16 v48, v50
	s_wait_loadcnt_dscnt 0x0
	s_barrier_signal -1
	s_barrier_wait -1
	global_inv scope:SCOPE_SE
	s_branch .LBB1_103
.LBB1_102:                              ;   in Loop: Header=BB1_103 Depth=2
	s_wait_alu 0xfffe
	s_or_b32 exec_lo, exec_lo, s30
	s_add_co_i32 s34, s34, 8
	s_wait_alu 0xfffe
	s_cmp_eq_u32 s34, 32
	s_cbranch_scc1 .LBB1_133
.LBB1_103:                              ;   Parent Loop BB1_53 Depth=1
                                        ; =>  This Inner Loop Header: Depth=2
	v_add_nc_u32_e32 v148, s34, v59
	ds_load_b64 v[55:56], v148
	s_wait_dscnt 0x0
	ds_store_b64 v60, v[55:56]
	s_wait_loadcnt_dscnt 0x0
	s_barrier_signal -1
	s_barrier_wait -1
	global_inv scope:SCOPE_SE
	s_and_saveexec_b32 s31, s23
	s_cbranch_execz .LBB1_105
; %bb.104:                              ;   in Loop: Header=BB1_103 Depth=2
	ds_load_b128 v[149:152], v75
	s_wait_dscnt 0x0
	v_add_co_u32 v55, s30, v151, v149
	s_wait_alu 0xf1ff
	v_add_co_ci_u32_e64 v56, null, v152, v150, s30
	ds_store_b64 v75, v[55:56] offset:8
.LBB1_105:                              ;   in Loop: Header=BB1_103 Depth=2
	s_wait_alu 0xfffe
	s_or_b32 exec_lo, exec_lo, s31
	s_wait_loadcnt_dscnt 0x0
	s_barrier_signal -1
	s_barrier_wait -1
	global_inv scope:SCOPE_SE
	s_and_saveexec_b32 s31, s24
	s_cbranch_execz .LBB1_107
; %bb.106:                              ;   in Loop: Header=BB1_103 Depth=2
	ds_load_b64 v[55:56], v62 offset:28696
	ds_load_b64 v[149:150], v61 offset:28696
	s_wait_dscnt 0x0
	v_add_co_u32 v55, s30, v149, v55
	s_wait_alu 0xf1ff
	v_add_co_ci_u32_e64 v56, null, v150, v56, s30
	ds_store_b64 v61, v[55:56] offset:28696
.LBB1_107:                              ;   in Loop: Header=BB1_103 Depth=2
	s_wait_alu 0xfffe
	s_or_b32 exec_lo, exec_lo, s31
	s_wait_loadcnt_dscnt 0x0
	s_barrier_signal -1
	s_barrier_wait -1
	global_inv scope:SCOPE_SE
	s_and_saveexec_b32 s31, s25
	s_cbranch_execz .LBB1_109
; %bb.108:                              ;   in Loop: Header=BB1_103 Depth=2
	ds_load_b64 v[55:56], v64 offset:28696
	ds_load_b64 v[149:150], v63 offset:28696
	s_wait_dscnt 0x0
	v_add_co_u32 v55, s30, v149, v55
	s_wait_alu 0xf1ff
	v_add_co_ci_u32_e64 v56, null, v150, v56, s30
	ds_store_b64 v63, v[55:56] offset:28696
.LBB1_109:                              ;   in Loop: Header=BB1_103 Depth=2
	;; [unrolled: 17-line block ×5, first 2 shown]
	s_wait_alu 0xfffe
	s_or_b32 exec_lo, exec_lo, s31
	s_wait_loadcnt_dscnt 0x0
	s_barrier_signal -1
	s_barrier_wait -1
	global_inv scope:SCOPE_SE
	s_and_saveexec_b32 s31, s29
	s_cbranch_execz .LBB1_117
; %bb.116:                              ;   in Loop: Header=BB1_103 Depth=2
	v_add_nc_u32_e64 v50, 24, 0
	ds_load_2addr_stride64_b64 v[149:152], v50 offset0:57 offset1:58
	s_wait_dscnt 0x0
	v_add_co_u32 v55, s30, v151, v149
	s_wait_alu 0xf1ff
	v_add_co_ci_u32_e64 v56, null, v152, v150, s30
	ds_store_b64 v49, v[55:56] offset:29720
.LBB1_117:                              ;   in Loop: Header=BB1_103 Depth=2
	s_wait_alu 0xfffe
	s_or_b32 exec_lo, exec_lo, s31
	s_wait_loadcnt_dscnt 0x0
	s_barrier_signal -1
	s_barrier_wait -1
	global_inv scope:SCOPE_SE
	s_wait_loadcnt 0x0
	s_barrier_signal -1
	s_barrier_wait -1
	global_inv scope:SCOPE_SE
	s_and_saveexec_b32 s31, s29
	s_cbranch_execz .LBB1_119
; %bb.118:                              ;   in Loop: Header=BB1_103 Depth=2
	ds_load_b64 v[55:56], v49 offset:29720
	v_mov_b32_e32 v50, v49
	v_add_nc_u32_e64 v153, 24, 0
	s_wait_dscnt 0x0
	ds_store_b64 v49, v[55:56] offset:29728
	s_wait_loadcnt_dscnt 0x0
	global_inv scope:SCOPE_SE
	ds_store_b64 v49, v[49:50] offset:29720
	s_wait_loadcnt_dscnt 0x0
	global_inv scope:SCOPE_SE
	ds_load_2addr_stride64_b64 v[149:152], v153 offset0:57 offset1:58
	s_wait_dscnt 0x0
	v_add_co_u32 v55, s30, v151, v149
	s_wait_alu 0xf1ff
	v_add_co_ci_u32_e64 v56, null, v152, v150, s30
	ds_store_2addr_stride64_b64 v153, v[151:152], v[55:56] offset0:57 offset1:58
.LBB1_119:                              ;   in Loop: Header=BB1_103 Depth=2
	s_wait_alu 0xfffe
	s_or_b32 exec_lo, exec_lo, s31
	s_wait_loadcnt_dscnt 0x0
	s_barrier_signal -1
	s_barrier_wait -1
	global_inv scope:SCOPE_SE
	s_and_saveexec_b32 s31, s28
	s_cbranch_execz .LBB1_121
; %bb.120:                              ;   in Loop: Header=BB1_103 Depth=2
	ds_load_b64 v[55:56], v70 offset:28696
	ds_load_b64 v[149:150], v69 offset:28696
	s_wait_dscnt 0x0
	v_add_co_u32 v55, s30, v149, v55
	s_wait_alu 0xf1ff
	v_add_co_ci_u32_e64 v56, null, v150, v56, s30
	ds_store_b64 v70, v[149:150] offset:28696
	ds_store_b64 v69, v[55:56] offset:28696
.LBB1_121:                              ;   in Loop: Header=BB1_103 Depth=2
	s_wait_alu 0xfffe
	s_or_b32 exec_lo, exec_lo, s31
	s_wait_loadcnt_dscnt 0x0
	s_barrier_signal -1
	s_barrier_wait -1
	global_inv scope:SCOPE_SE
	s_and_saveexec_b32 s31, s27
	s_cbranch_execz .LBB1_123
; %bb.122:                              ;   in Loop: Header=BB1_103 Depth=2
	ds_load_b64 v[55:56], v68 offset:28696
	ds_load_b64 v[149:150], v67 offset:28696
	s_wait_dscnt 0x0
	v_add_co_u32 v55, s30, v149, v55
	s_wait_alu 0xf1ff
	v_add_co_ci_u32_e64 v56, null, v150, v56, s30
	ds_store_b64 v68, v[149:150] offset:28696
	ds_store_b64 v67, v[55:56] offset:28696
.LBB1_123:                              ;   in Loop: Header=BB1_103 Depth=2
	;; [unrolled: 18-line block ×5, first 2 shown]
	s_wait_alu 0xfffe
	s_or_b32 exec_lo, exec_lo, s31
	s_wait_loadcnt_dscnt 0x0
	s_barrier_signal -1
	s_barrier_wait -1
	global_inv scope:SCOPE_SE
	s_and_saveexec_b32 s31, s23
	s_cbranch_execz .LBB1_131
; %bb.130:                              ;   in Loop: Header=BB1_103 Depth=2
	ds_load_b128 v[149:152], v75
	s_wait_dscnt 0x0
	v_add_co_u32 v153, s30, v151, v149
	s_wait_alu 0xf1ff
	v_add_co_ci_u32_e64 v154, null, v152, v150, s30
	ds_store_b128 v75, v[151:154]
.LBB1_131:                              ;   in Loop: Header=BB1_103 Depth=2
	s_wait_alu 0xfffe
	s_or_b32 exec_lo, exec_lo, s31
	s_wait_loadcnt_dscnt 0x0
	s_barrier_signal -1
	s_barrier_wait -1
	global_inv scope:SCOPE_SE
	s_wait_loadcnt 0x0
	s_barrier_signal -1
	s_barrier_wait -1
	global_inv scope:SCOPE_SE
	ds_load_b64 v[55:56], v49 offset:29728
	s_wait_loadcnt_dscnt 0x0
	s_barrier_signal -1
	s_barrier_wait -1
	global_inv scope:SCOPE_SE
	ds_load_b64 v[149:150], v60
	s_wait_dscnt 0x0
	ds_store_b64 v148, v[149:150]
	s_and_saveexec_b32 s30, s29
	s_cbranch_execz .LBB1_102
; %bb.132:                              ;   in Loop: Header=BB1_103 Depth=2
	v_mov_b32_e32 v50, s34
	ds_store_b64 v50, v[55:56] offset:28672
	s_branch .LBB1_102
.LBB1_133:                              ;   in Loop: Header=BB1_53 Depth=1
	s_wait_loadcnt_dscnt 0x0
	s_barrier_signal -1
	s_barrier_wait -1
	global_inv scope:SCOPE_SE
	s_and_saveexec_b32 s30, s26
	s_cbranch_execz .LBB1_135
; %bb.134:                              ;   in Loop: Header=BB1_53 Depth=1
	ds_load_b32 v50, v76 offset:4096
	s_wait_dscnt 0x0
	v_lshrrev_b32_e32 v55, 16, v50
	s_delay_alu instid0(VALU_DEP_1)
	v_add_nc_u16 v50, v55, v50
	ds_store_b16 v76, v50 offset:4098
.LBB1_135:                              ;   in Loop: Header=BB1_53 Depth=1
	s_wait_alu 0xfffe
	s_or_b32 exec_lo, exec_lo, s30
	s_wait_loadcnt_dscnt 0x0
	s_barrier_signal -1
	s_barrier_wait -1
	global_inv scope:SCOPE_SE
	s_and_saveexec_b32 s30, s27
	s_cbranch_execz .LBB1_137
; %bb.136:                              ;   in Loop: Header=BB1_53 Depth=1
	ds_load_u16 v50, v71 offset:28670
	ds_load_u16 v55, v72 offset:28670
	s_wait_dscnt 0x0
	v_add_nc_u16 v50, v55, v50
	ds_store_b16 v72, v50 offset:28670
.LBB1_137:                              ;   in Loop: Header=BB1_53 Depth=1
	s_wait_alu 0xfffe
	s_or_b32 exec_lo, exec_lo, s30
	s_wait_loadcnt_dscnt 0x0
	s_barrier_signal -1
	s_barrier_wait -1
	global_inv scope:SCOPE_SE
	s_and_saveexec_b32 s30, s28
	s_cbranch_execz .LBB1_139
; %bb.138:                              ;   in Loop: Header=BB1_53 Depth=1
	ds_load_u16 v50, v73 offset:28670
	ds_load_u16 v55, v74 offset:28670
	s_wait_dscnt 0x0
	v_add_nc_u16 v50, v55, v50
	ds_store_b16 v74, v50 offset:28670
.LBB1_139:                              ;   in Loop: Header=BB1_53 Depth=1
	s_wait_alu 0xfffe
	s_or_b32 exec_lo, exec_lo, s30
	s_wait_loadcnt_dscnt 0x0
	s_barrier_signal -1
	s_barrier_wait -1
	global_inv scope:SCOPE_SE
	s_and_saveexec_b32 s30, s29
	s_cbranch_execz .LBB1_141
; %bb.140:                              ;   in Loop: Header=BB1_53 Depth=1
	ds_load_u16 v50, v49 offset:28686
	ds_load_u16 v55, v49 offset:28702
	s_wait_dscnt 0x0
	v_add_nc_u32_e32 v50, v55, v50
	ds_store_b16 v49, v50 offset:28702
.LBB1_141:                              ;   in Loop: Header=BB1_53 Depth=1
	s_wait_alu 0xfffe
	s_or_b32 exec_lo, exec_lo, s30
	s_wait_loadcnt_dscnt 0x0
	s_barrier_signal -1
	s_barrier_wait -1
	global_inv scope:SCOPE_SE
	s_wait_loadcnt 0x0
	s_barrier_signal -1
	s_barrier_wait -1
	global_inv scope:SCOPE_SE
	s_and_saveexec_b32 s30, s29
	s_cbranch_execz .LBB1_143
; %bb.142:                              ;   in Loop: Header=BB1_53 Depth=1
	ds_load_u16 v50, v49 offset:28702
	s_wait_dscnt 0x0
	ds_store_b16 v49, v50 offset:29736
	s_wait_loadcnt_dscnt 0x0
	global_inv scope:SCOPE_SE
	ds_store_b16 v49, v49 offset:28702
	s_wait_loadcnt_dscnt 0x0
	global_inv scope:SCOPE_SE
	ds_load_u16 v50, v49 offset:28686
	ds_load_u16 v55, v49 offset:28702
	s_wait_dscnt 0x0
	v_add_nc_u32_e32 v50, v55, v50
	ds_store_b16 v49, v55 offset:28686
	ds_store_b16 v49, v50 offset:28702
.LBB1_143:                              ;   in Loop: Header=BB1_53 Depth=1
	s_wait_alu 0xfffe
	s_or_b32 exec_lo, exec_lo, s30
	s_wait_loadcnt_dscnt 0x0
	s_barrier_signal -1
	s_barrier_wait -1
	global_inv scope:SCOPE_SE
	s_and_saveexec_b32 s30, s28
	s_cbranch_execz .LBB1_145
; %bb.144:                              ;   in Loop: Header=BB1_53 Depth=1
	ds_load_u16 v50, v73 offset:28670
	ds_load_u16 v55, v74 offset:28670
	s_wait_dscnt 0x0
	v_add_nc_u16 v50, v55, v50
	ds_store_b16 v73, v55 offset:28670
	ds_store_b16 v74, v50 offset:28670
.LBB1_145:                              ;   in Loop: Header=BB1_53 Depth=1
	s_wait_alu 0xfffe
	s_or_b32 exec_lo, exec_lo, s30
	s_wait_loadcnt_dscnt 0x0
	s_barrier_signal -1
	s_barrier_wait -1
	global_inv scope:SCOPE_SE
	s_and_saveexec_b32 s30, s27
	s_cbranch_execz .LBB1_147
; %bb.146:                              ;   in Loop: Header=BB1_53 Depth=1
	ds_load_u16 v50, v71 offset:28670
	ds_load_u16 v55, v72 offset:28670
	s_wait_dscnt 0x0
	v_add_nc_u16 v50, v55, v50
	ds_store_b16 v71, v55 offset:28670
	ds_store_b16 v72, v50 offset:28670
.LBB1_147:                              ;   in Loop: Header=BB1_53 Depth=1
	s_wait_alu 0xfffe
	s_or_b32 exec_lo, exec_lo, s30
	s_wait_loadcnt_dscnt 0x0
	s_barrier_signal -1
	s_barrier_wait -1
	global_inv scope:SCOPE_SE
	s_and_saveexec_b32 s30, s26
	s_cbranch_execz .LBB1_52
; %bb.148:                              ;   in Loop: Header=BB1_53 Depth=1
	ds_load_b32 v50, v76 offset:4096
	s_wait_dscnt 0x0
	v_lshrrev_b32_e32 v55, 16, v50
	s_delay_alu instid0(VALU_DEP_1) | instskip(NEXT) | instid1(VALU_DEP_1)
	v_add_nc_u16 v55, v55, v50
	v_alignbit_b32 v50, v55, v50, 16
	ds_store_b32 v76, v50 offset:4096
	s_branch .LBB1_52
.LBB1_149:
	s_and_saveexec_b32 s23, vcc_lo
	s_cbranch_execnz .LBB1_173
; %bb.150:
	s_or_b32 exec_lo, exec_lo, s23
	s_and_saveexec_b32 s23, s0
	s_cbranch_execnz .LBB1_174
.LBB1_151:
	s_or_b32 exec_lo, exec_lo, s23
	s_and_saveexec_b32 s0, s1
	s_cbranch_execnz .LBB1_175
.LBB1_152:
	s_or_b32 exec_lo, exec_lo, s0
	s_and_saveexec_b32 s0, s2
	s_cbranch_execnz .LBB1_176
.LBB1_153:
	s_or_b32 exec_lo, exec_lo, s0
	s_and_saveexec_b32 s0, s3
	s_cbranch_execnz .LBB1_177
.LBB1_154:
	s_or_b32 exec_lo, exec_lo, s0
	s_and_saveexec_b32 s0, s4
	s_cbranch_execnz .LBB1_178
.LBB1_155:
	s_or_b32 exec_lo, exec_lo, s0
	s_and_saveexec_b32 s0, s5
	s_cbranch_execnz .LBB1_179
.LBB1_156:
	s_or_b32 exec_lo, exec_lo, s0
	s_and_saveexec_b32 s0, s6
	s_cbranch_execnz .LBB1_180
.LBB1_157:
	s_or_b32 exec_lo, exec_lo, s0
	s_and_saveexec_b32 s0, s7
	s_cbranch_execnz .LBB1_181
.LBB1_158:
	s_or_b32 exec_lo, exec_lo, s0
	s_and_saveexec_b32 s0, s8
	s_cbranch_execnz .LBB1_182
.LBB1_159:
	s_or_b32 exec_lo, exec_lo, s0
	s_and_saveexec_b32 s0, s9
	s_cbranch_execnz .LBB1_183
.LBB1_160:
	s_or_b32 exec_lo, exec_lo, s0
	s_and_saveexec_b32 s0, s10
	s_cbranch_execnz .LBB1_184
.LBB1_161:
	s_or_b32 exec_lo, exec_lo, s0
	s_and_saveexec_b32 s0, s11
	s_cbranch_execnz .LBB1_185
.LBB1_162:
	s_or_b32 exec_lo, exec_lo, s0
	s_and_saveexec_b32 s0, s12
	s_cbranch_execnz .LBB1_186
.LBB1_163:
	s_or_b32 exec_lo, exec_lo, s0
	s_and_saveexec_b32 s0, s13
	s_cbranch_execnz .LBB1_187
.LBB1_164:
	s_or_b32 exec_lo, exec_lo, s0
	s_and_saveexec_b32 s0, s14
	s_cbranch_execnz .LBB1_188
.LBB1_165:
	s_or_b32 exec_lo, exec_lo, s0
	s_and_saveexec_b32 s0, s15
	s_cbranch_execnz .LBB1_189
.LBB1_166:
	s_or_b32 exec_lo, exec_lo, s0
	s_and_saveexec_b32 s0, s16
	s_cbranch_execnz .LBB1_190
.LBB1_167:
	s_or_b32 exec_lo, exec_lo, s0
	s_and_saveexec_b32 s0, s17
	s_cbranch_execnz .LBB1_191
.LBB1_168:
	s_or_b32 exec_lo, exec_lo, s0
	s_and_saveexec_b32 s0, s18
	s_cbranch_execnz .LBB1_192
.LBB1_169:
	s_or_b32 exec_lo, exec_lo, s0
	s_and_saveexec_b32 s0, s19
	s_cbranch_execnz .LBB1_193
.LBB1_170:
	s_or_b32 exec_lo, exec_lo, s0
	s_and_saveexec_b32 s0, s20
	s_cbranch_execnz .LBB1_194
.LBB1_171:
	s_or_b32 exec_lo, exec_lo, s0
	s_and_saveexec_b32 s0, s21
	s_cbranch_execnz .LBB1_195
.LBB1_172:
	s_or_b32 exec_lo, exec_lo, s0
	s_and_saveexec_b32 s0, s22
	s_cbranch_execz .LBB1_1
	s_branch .LBB1_196
.LBB1_173:
	s_wait_dscnt 0xb
	global_store_b32 v57, v1, s[40:41]
	s_wait_dscnt 0x7
	global_store_b32 v57, v5, s[42:43]
	s_or_b32 exec_lo, exec_lo, s23
	s_and_saveexec_b32 s23, s0
	s_cbranch_execz .LBB1_151
.LBB1_174:
	s_wait_dscnt 0xb
	global_store_b32 v57, v2, s[40:41] offset:4
	s_wait_dscnt 0x7
	global_store_b32 v57, v6, s[42:43] offset:4
	s_or_b32 exec_lo, exec_lo, s23
	s_and_saveexec_b32 s0, s1
	s_cbranch_execz .LBB1_152
.LBB1_175:
	s_wait_dscnt 0xb
	global_store_b32 v57, v3, s[40:41] offset:8
	s_wait_dscnt 0x7
	global_store_b32 v57, v7, s[42:43] offset:8
	s_or_b32 exec_lo, exec_lo, s0
	s_and_saveexec_b32 s0, s2
	s_cbranch_execz .LBB1_153
.LBB1_176:
	s_wait_dscnt 0xb
	global_store_b32 v57, v4, s[40:41] offset:12
	s_wait_dscnt 0x7
	global_store_b32 v57, v8, s[42:43] offset:12
	s_or_b32 exec_lo, exec_lo, s0
	s_and_saveexec_b32 s0, s3
	s_cbranch_execz .LBB1_154
.LBB1_177:
	s_wait_dscnt 0xa
	global_store_b32 v57, v9, s[40:41] offset:16
	s_wait_dscnt 0x6
	global_store_b32 v57, v13, s[42:43] offset:16
	s_or_b32 exec_lo, exec_lo, s0
	s_and_saveexec_b32 s0, s4
	s_cbranch_execz .LBB1_155
.LBB1_178:
	s_wait_dscnt 0xa
	global_store_b32 v57, v10, s[40:41] offset:20
	s_wait_dscnt 0x6
	global_store_b32 v57, v14, s[42:43] offset:20
	s_or_b32 exec_lo, exec_lo, s0
	s_and_saveexec_b32 s0, s5
	s_cbranch_execz .LBB1_156
.LBB1_179:
	s_wait_dscnt 0xa
	global_store_b32 v57, v11, s[40:41] offset:24
	s_wait_dscnt 0x6
	global_store_b32 v57, v15, s[42:43] offset:24
	s_or_b32 exec_lo, exec_lo, s0
	s_and_saveexec_b32 s0, s6
	s_cbranch_execz .LBB1_157
.LBB1_180:
	s_wait_dscnt 0xa
	global_store_b32 v57, v12, s[40:41] offset:28
	s_wait_dscnt 0x6
	global_store_b32 v57, v16, s[42:43] offset:28
	s_or_b32 exec_lo, exec_lo, s0
	s_and_saveexec_b32 s0, s7
	s_cbranch_execz .LBB1_158
.LBB1_181:
	s_wait_dscnt 0x9
	global_store_b32 v57, v17, s[40:41] offset:32
	s_wait_dscnt 0x5
	global_store_b32 v57, v21, s[42:43] offset:32
	s_or_b32 exec_lo, exec_lo, s0
	s_and_saveexec_b32 s0, s8
	s_cbranch_execz .LBB1_159
.LBB1_182:
	s_wait_dscnt 0x9
	global_store_b32 v57, v18, s[40:41] offset:36
	s_wait_dscnt 0x5
	global_store_b32 v57, v22, s[42:43] offset:36
	s_or_b32 exec_lo, exec_lo, s0
	s_and_saveexec_b32 s0, s9
	s_cbranch_execz .LBB1_160
.LBB1_183:
	s_wait_dscnt 0x9
	global_store_b32 v57, v19, s[40:41] offset:40
	s_wait_dscnt 0x5
	global_store_b32 v57, v23, s[42:43] offset:40
	s_or_b32 exec_lo, exec_lo, s0
	s_and_saveexec_b32 s0, s10
	s_cbranch_execz .LBB1_161
.LBB1_184:
	s_wait_dscnt 0x9
	global_store_b32 v57, v20, s[40:41] offset:44
	s_wait_dscnt 0x5
	global_store_b32 v57, v24, s[42:43] offset:44
	s_or_b32 exec_lo, exec_lo, s0
	s_and_saveexec_b32 s0, s11
	s_cbranch_execz .LBB1_162
.LBB1_185:
	s_wait_dscnt 0x8
	global_store_b32 v57, v25, s[40:41] offset:48
	s_wait_dscnt 0x4
	global_store_b32 v57, v29, s[42:43] offset:48
	s_or_b32 exec_lo, exec_lo, s0
	s_and_saveexec_b32 s0, s12
	s_cbranch_execz .LBB1_163
.LBB1_186:
	s_wait_dscnt 0x8
	global_store_b32 v57, v26, s[40:41] offset:52
	s_wait_dscnt 0x4
	global_store_b32 v57, v30, s[42:43] offset:52
	s_or_b32 exec_lo, exec_lo, s0
	s_and_saveexec_b32 s0, s13
	s_cbranch_execz .LBB1_164
.LBB1_187:
	s_wait_dscnt 0x8
	global_store_b32 v57, v27, s[40:41] offset:56
	s_wait_dscnt 0x4
	global_store_b32 v57, v31, s[42:43] offset:56
	s_or_b32 exec_lo, exec_lo, s0
	s_and_saveexec_b32 s0, s14
	s_cbranch_execz .LBB1_165
.LBB1_188:
	s_wait_dscnt 0x8
	global_store_b32 v57, v28, s[40:41] offset:60
	s_wait_dscnt 0x4
	global_store_b32 v57, v32, s[42:43] offset:60
	s_or_b32 exec_lo, exec_lo, s0
	s_and_saveexec_b32 s0, s15
	s_cbranch_execz .LBB1_166
.LBB1_189:
	s_wait_dscnt 0x3
	global_store_b32 v57, v33, s[40:41] offset:64
	s_wait_dscnt 0x1
	global_store_b32 v57, v37, s[42:43] offset:64
	s_or_b32 exec_lo, exec_lo, s0
	s_and_saveexec_b32 s0, s16
	s_cbranch_execz .LBB1_167
.LBB1_190:
	s_wait_dscnt 0x3
	global_store_b32 v57, v34, s[40:41] offset:68
	s_wait_dscnt 0x1
	global_store_b32 v57, v38, s[42:43] offset:68
	s_or_b32 exec_lo, exec_lo, s0
	s_and_saveexec_b32 s0, s17
	s_cbranch_execz .LBB1_168
.LBB1_191:
	s_wait_dscnt 0x3
	global_store_b32 v57, v35, s[40:41] offset:72
	s_wait_dscnt 0x1
	global_store_b32 v57, v39, s[42:43] offset:72
	s_or_b32 exec_lo, exec_lo, s0
	s_and_saveexec_b32 s0, s18
	s_cbranch_execz .LBB1_169
.LBB1_192:
	s_wait_dscnt 0x3
	global_store_b32 v57, v36, s[40:41] offset:76
	s_wait_dscnt 0x1
	global_store_b32 v57, v40, s[42:43] offset:76
	s_or_b32 exec_lo, exec_lo, s0
	s_and_saveexec_b32 s0, s19
	s_cbranch_execz .LBB1_170
.LBB1_193:
	s_wait_dscnt 0x2
	global_store_b32 v57, v41, s[40:41] offset:80
	s_wait_dscnt 0x0
	global_store_b32 v57, v45, s[42:43] offset:80
	s_or_b32 exec_lo, exec_lo, s0
	s_and_saveexec_b32 s0, s20
	s_cbranch_execz .LBB1_171
.LBB1_194:
	s_wait_dscnt 0x2
	global_store_b32 v57, v42, s[40:41] offset:84
	s_wait_dscnt 0x0
	global_store_b32 v57, v46, s[42:43] offset:84
	s_or_b32 exec_lo, exec_lo, s0
	s_and_saveexec_b32 s0, s21
	s_cbranch_execz .LBB1_172
.LBB1_195:
	s_wait_dscnt 0x2
	global_store_b32 v57, v43, s[40:41] offset:88
	s_wait_dscnt 0x0
	global_store_b32 v57, v47, s[42:43] offset:88
	s_or_b32 exec_lo, exec_lo, s0
	s_and_saveexec_b32 s0, s22
	s_cbranch_execz .LBB1_1
.LBB1_196:
	s_wait_dscnt 0x2
	global_store_b32 v57, v44, s[40:41] offset:92
	s_wait_dscnt 0x0
	global_store_b32 v57, v48, s[42:43] offset:92
	s_nop 0
	s_sendmsg sendmsg(MSG_DEALLOC_VGPRS)
	s_endpgm
	.section	.rodata,"a",@progbits
	.p2align	6, 0x0
	.amdhsa_kernel SortSinglePassKVKernel
		.amdhsa_group_segment_fixed_size 29744
		.amdhsa_private_segment_fixed_size 0
		.amdhsa_kernarg_size 44
		.amdhsa_user_sgpr_count 2
		.amdhsa_user_sgpr_dispatch_ptr 0
		.amdhsa_user_sgpr_queue_ptr 0
		.amdhsa_user_sgpr_kernarg_segment_ptr 1
		.amdhsa_user_sgpr_dispatch_id 0
		.amdhsa_user_sgpr_private_segment_size 0
		.amdhsa_wavefront_size32 1
		.amdhsa_uses_dynamic_stack 0
		.amdhsa_enable_private_segment 0
		.amdhsa_system_sgpr_workgroup_id_x 1
		.amdhsa_system_sgpr_workgroup_id_y 0
		.amdhsa_system_sgpr_workgroup_id_z 0
		.amdhsa_system_sgpr_workgroup_info 0
		.amdhsa_system_vgpr_workitem_id 0
		.amdhsa_next_free_vgpr 155
		.amdhsa_next_free_sgpr 47
		.amdhsa_reserve_vcc 1
		.amdhsa_float_round_mode_32 0
		.amdhsa_float_round_mode_16_64 0
		.amdhsa_float_denorm_mode_32 3
		.amdhsa_float_denorm_mode_16_64 3
		.amdhsa_fp16_overflow 0
		.amdhsa_workgroup_processor_mode 1
		.amdhsa_memory_ordered 1
		.amdhsa_forward_progress 1
		.amdhsa_inst_pref_size 119
		.amdhsa_round_robin_scheduling 0
		.amdhsa_exception_fp_ieee_invalid_op 0
		.amdhsa_exception_fp_denorm_src 0
		.amdhsa_exception_fp_ieee_div_zero 0
		.amdhsa_exception_fp_ieee_overflow 0
		.amdhsa_exception_fp_ieee_underflow 0
		.amdhsa_exception_fp_ieee_inexact 0
		.amdhsa_exception_int_div_zero 0
	.end_amdhsa_kernel
	.text
.Lfunc_end1:
	.size	SortSinglePassKVKernel, .Lfunc_end1-SortSinglePassKVKernel
                                        ; -- End function
	.set SortSinglePassKVKernel.num_vgpr, 155
	.set SortSinglePassKVKernel.num_agpr, 0
	.set SortSinglePassKVKernel.numbered_sgpr, 47
	.set SortSinglePassKVKernel.num_named_barrier, 0
	.set SortSinglePassKVKernel.private_seg_size, 0
	.set SortSinglePassKVKernel.uses_vcc, 1
	.set SortSinglePassKVKernel.uses_flat_scratch, 0
	.set SortSinglePassKVKernel.has_dyn_sized_stack, 0
	.set SortSinglePassKVKernel.has_recursion, 0
	.set SortSinglePassKVKernel.has_indirect_call, 0
	.section	.AMDGPU.csdata,"",@progbits
; Kernel info:
; codeLenInByte = 15140
; TotalNumSgprs: 49
; NumVgprs: 155
; ScratchSize: 0
; MemoryBound: 0
; FloatMode: 240
; IeeeMode: 1
; LDSByteSize: 29744 bytes/workgroup (compile time only)
; SGPRBlocks: 0
; VGPRBlocks: 19
; NumSGPRsForWavesPerEU: 49
; NumVGPRsForWavesPerEU: 155
; Occupancy: 9
; WaveLimiterHint : 0
; COMPUTE_PGM_RSRC2:SCRATCH_EN: 0
; COMPUTE_PGM_RSRC2:USER_SGPR: 2
; COMPUTE_PGM_RSRC2:TRAP_HANDLER: 0
; COMPUTE_PGM_RSRC2:TGID_X_EN: 1
; COMPUTE_PGM_RSRC2:TGID_Y_EN: 0
; COMPUTE_PGM_RSRC2:TGID_Z_EN: 0
; COMPUTE_PGM_RSRC2:TIDIG_COMP_CNT: 0
	.text
	.protected	GHistogram              ; -- Begin function GHistogram
	.globl	GHistogram
	.p2align	8
	.type	GHistogram,@function
GHistogram:                             ; @GHistogram
; %bb.0:
	v_cmp_gt_u32_e64 s2, 0x100, v0
	v_lshlrev_b32_e32 v3, 2, v0
	s_and_saveexec_b32 s3, s2
	s_cbranch_execz .LBB2_2
; %bb.1:
	v_mov_b32_e32 v1, 0
	ds_store_2addr_stride64_b32 v3, v1, v1 offset1:4
	ds_store_2addr_stride64_b32 v3, v1, v1 offset0:8 offset1:12
.LBB2_2:
	s_or_b32 exec_lo, exec_lo, s3
	s_clause 0x2
	s_load_b96 s[4:6], s[0:1], 0x0
	s_load_b32 s7, s[0:1], 0x18
	s_load_b64 s[8:9], s[0:1], 0x20
	v_cmp_eq_u32_e64 s3, 0, v0
	v_dual_mov_b32 v5, -1 :: v_dual_lshlrev_b32 v4, 3, v0
	v_mov_b32_e32 v2, 0
	s_wait_kmcnt 0x0
	s_add_co_i32 s12, s6, 0x7ff
	s_add_co_i32 s10, s7, 8
	s_add_co_i32 s11, s7, 16
	s_lshr_b32 s12, s12, 11
	s_add_co_i32 s13, s7, 24
	s_branch .LBB2_5
.LBB2_3:                                ;   in Loop: Header=BB2_5 Depth=1
	s_or_b32 exec_lo, exec_lo, s14
	s_mov_b32 s14, 0
	s_wait_loadcnt_dscnt 0x0
	s_barrier_signal -1
	s_barrier_wait -1
	global_inv scope:SCOPE_SE
.LBB2_4:                                ;   in Loop: Header=BB2_5 Depth=1
	s_and_b32 vcc_lo, exec_lo, s14
	s_wait_alu 0xfffe
	s_cbranch_vccnz .LBB2_24
.LBB2_5:                                ; =>This Inner Loop Header: Depth=1
	s_and_saveexec_b32 s14, s3
	s_cbranch_execz .LBB2_7
; %bb.6:                                ;   in Loop: Header=BB2_5 Depth=1
	global_atomic_inc_u32 v1, v2, v5, s[8:9] th:TH_ATOMIC_RETURN scope:SCOPE_DEV
	s_wait_loadcnt 0x0
	ds_store_b32 v2, v1 offset:4096
.LBB2_7:                                ;   in Loop: Header=BB2_5 Depth=1
	s_or_b32 exec_lo, exec_lo, s14
	s_wait_dscnt 0x0
	s_barrier_signal -1
	s_barrier_wait -1
	global_inv scope:SCOPE_SE
	ds_load_b32 v1, v2 offset:4096
	s_mov_b32 s14, -1
	s_wait_dscnt 0x0
	v_cmp_le_u32_e32 vcc_lo, s12, v1
	s_cbranch_vccnz .LBB2_4
; %bb.8:                                ;   in Loop: Header=BB2_5 Depth=1
	v_lshl_add_u32 v1, v1, 11, v4
	s_mov_b32 s14, exec_lo
	s_delay_alu instid0(VALU_DEP_1)
	v_cmpx_gt_u32_e64 s6, v1
	s_cbranch_execz .LBB2_10
; %bb.9:                                ;   in Loop: Header=BB2_5 Depth=1
	v_lshlrev_b64_e32 v[6:7], 2, v[1:2]
	s_delay_alu instid0(VALU_DEP_1) | instskip(SKIP_1) | instid1(VALU_DEP_2)
	v_add_co_u32 v6, vcc_lo, s4, v6
	s_wait_alu 0xfffd
	v_add_co_ci_u32_e64 v7, null, s5, v7, vcc_lo
	global_load_b32 v6, v[6:7], off
	s_wait_loadcnt 0x0
	v_bfe_u32 v7, v6, s7, 8
	v_bfe_u32 v8, v6, s10, 8
	;; [unrolled: 1-line block ×4, first 2 shown]
	s_delay_alu instid0(VALU_DEP_4) | instskip(NEXT) | instid1(VALU_DEP_4)
	v_lshlrev_b32_e32 v7, 2, v7
	v_lshlrev_b32_e32 v8, 2, v8
	s_delay_alu instid0(VALU_DEP_4) | instskip(NEXT) | instid1(VALU_DEP_4)
	v_lshlrev_b32_e32 v9, 2, v9
	v_lshlrev_b32_e32 v6, 2, v6
	ds_inc_u32 v7, v5
	ds_inc_u32 v8, v5 offset:1024
	ds_inc_u32 v9, v5 offset:2048
	;; [unrolled: 1-line block ×3, first 2 shown]
.LBB2_10:                               ;   in Loop: Header=BB2_5 Depth=1
	s_or_b32 exec_lo, exec_lo, s14
	v_or_b32_e32 v6, 1, v1
	s_mov_b32 s14, exec_lo
	s_delay_alu instid0(VALU_DEP_1)
	v_cmpx_gt_u32_e64 s6, v6
	s_cbranch_execz .LBB2_12
; %bb.11:                               ;   in Loop: Header=BB2_5 Depth=1
	v_lshlrev_b64_e32 v[6:7], 2, v[1:2]
	s_delay_alu instid0(VALU_DEP_1) | instskip(SKIP_1) | instid1(VALU_DEP_2)
	v_add_co_u32 v6, vcc_lo, s4, v6
	s_wait_alu 0xfffd
	v_add_co_ci_u32_e64 v7, null, s5, v7, vcc_lo
	global_load_b32 v6, v[6:7], off offset:4
	s_wait_loadcnt 0x0
	v_bfe_u32 v7, v6, s7, 8
	v_bfe_u32 v8, v6, s10, 8
	v_bfe_u32 v9, v6, s11, 8
	v_bfe_u32 v6, v6, s13, 8
	s_delay_alu instid0(VALU_DEP_4) | instskip(NEXT) | instid1(VALU_DEP_4)
	v_lshlrev_b32_e32 v7, 2, v7
	v_lshlrev_b32_e32 v8, 2, v8
	s_delay_alu instid0(VALU_DEP_4) | instskip(NEXT) | instid1(VALU_DEP_4)
	v_lshlrev_b32_e32 v9, 2, v9
	v_lshlrev_b32_e32 v6, 2, v6
	ds_inc_u32 v7, v5
	ds_inc_u32 v8, v5 offset:1024
	ds_inc_u32 v9, v5 offset:2048
	ds_inc_u32 v6, v5 offset:3072
.LBB2_12:                               ;   in Loop: Header=BB2_5 Depth=1
	s_or_b32 exec_lo, exec_lo, s14
	v_or_b32_e32 v6, 2, v1
	s_mov_b32 s14, exec_lo
	s_delay_alu instid0(VALU_DEP_1)
	v_cmpx_gt_u32_e64 s6, v6
	s_cbranch_execz .LBB2_14
; %bb.13:                               ;   in Loop: Header=BB2_5 Depth=1
	v_lshlrev_b64_e32 v[6:7], 2, v[1:2]
	s_delay_alu instid0(VALU_DEP_1) | instskip(SKIP_1) | instid1(VALU_DEP_2)
	v_add_co_u32 v6, vcc_lo, s4, v6
	s_wait_alu 0xfffd
	v_add_co_ci_u32_e64 v7, null, s5, v7, vcc_lo
	global_load_b32 v6, v[6:7], off offset:8
	s_wait_loadcnt 0x0
	v_bfe_u32 v7, v6, s7, 8
	v_bfe_u32 v8, v6, s10, 8
	v_bfe_u32 v9, v6, s11, 8
	v_bfe_u32 v6, v6, s13, 8
	s_delay_alu instid0(VALU_DEP_4) | instskip(NEXT) | instid1(VALU_DEP_4)
	v_lshlrev_b32_e32 v7, 2, v7
	v_lshlrev_b32_e32 v8, 2, v8
	s_delay_alu instid0(VALU_DEP_4) | instskip(NEXT) | instid1(VALU_DEP_4)
	v_lshlrev_b32_e32 v9, 2, v9
	v_lshlrev_b32_e32 v6, 2, v6
	ds_inc_u32 v7, v5
	ds_inc_u32 v8, v5 offset:1024
	ds_inc_u32 v9, v5 offset:2048
	ds_inc_u32 v6, v5 offset:3072
.LBB2_14:                               ;   in Loop: Header=BB2_5 Depth=1
	;; [unrolled: 29-line block ×6, first 2 shown]
	s_or_b32 exec_lo, exec_lo, s14
	v_or_b32_e32 v6, 7, v1
	s_mov_b32 s14, exec_lo
	s_delay_alu instid0(VALU_DEP_1)
	v_cmpx_gt_u32_e64 s6, v6
	s_cbranch_execz .LBB2_3
; %bb.23:                               ;   in Loop: Header=BB2_5 Depth=1
	v_lshlrev_b64_e32 v[6:7], 2, v[1:2]
	s_delay_alu instid0(VALU_DEP_1) | instskip(SKIP_1) | instid1(VALU_DEP_2)
	v_add_co_u32 v6, vcc_lo, s4, v6
	s_wait_alu 0xfffd
	v_add_co_ci_u32_e64 v7, null, s5, v7, vcc_lo
	global_load_b32 v1, v[6:7], off offset:28
	s_wait_loadcnt 0x0
	v_bfe_u32 v6, v1, s7, 8
	v_bfe_u32 v7, v1, s10, 8
	;; [unrolled: 1-line block ×4, first 2 shown]
	s_delay_alu instid0(VALU_DEP_4) | instskip(NEXT) | instid1(VALU_DEP_4)
	v_lshlrev_b32_e32 v6, 2, v6
	v_lshlrev_b32_e32 v7, 2, v7
	s_delay_alu instid0(VALU_DEP_4) | instskip(NEXT) | instid1(VALU_DEP_4)
	v_lshlrev_b32_e32 v8, 2, v8
	v_lshlrev_b32_e32 v1, 2, v1
	ds_inc_u32 v6, v5
	ds_inc_u32 v7, v5 offset:1024
	ds_inc_u32 v8, v5 offset:2048
	;; [unrolled: 1-line block ×3, first 2 shown]
	s_branch .LBB2_3
.LBB2_24:
	v_cmp_gt_u32_e32 vcc_lo, 0x100, v0
	v_mov_b32_e32 v1, 0
	s_and_saveexec_b32 s3, vcc_lo
; %bb.25:
	ds_load_b32 v1, v3
; %bb.26:
	s_or_b32 exec_lo, exec_lo, s3
	v_add_nc_u32_e32 v4, 0xffffff00, v0
	s_wait_dscnt 0x0
	v_mov_b32_e32 v2, v1
	s_delay_alu instid0(VALU_DEP_2)
	v_cmp_lt_u32_e64 s4, 0xffffff00, v4
	s_and_saveexec_b32 s3, s4
	s_cbranch_execz .LBB2_28
; %bb.27:
	v_add_nc_u32_e32 v2, -4, v3
	ds_load_b32 v2, v2
	s_wait_dscnt 0x0
	v_add_nc_u32_e32 v2, v2, v1
.LBB2_28:
	s_or_b32 exec_lo, exec_lo, s3
	s_wait_loadcnt 0x0
	s_barrier_signal -1
	s_barrier_wait -1
	global_inv scope:SCOPE_SE
	s_and_saveexec_b32 s3, vcc_lo
; %bb.29:
	ds_store_b32 v3, v2
; %bb.30:
	s_or_b32 exec_lo, exec_lo, s3
	v_cmp_lt_u32_e64 s3, 0xffffff01, v4
	s_wait_loadcnt_dscnt 0x0
	s_barrier_signal -1
	s_barrier_wait -1
	global_inv scope:SCOPE_SE
	s_and_saveexec_b32 s5, s3
	s_cbranch_execz .LBB2_32
; %bb.31:
	v_add_nc_u32_e32 v5, -8, v3
	ds_load_b32 v5, v5
	s_wait_dscnt 0x0
	v_add_nc_u32_e32 v2, v5, v2
.LBB2_32:
	s_wait_alu 0xfffe
	s_or_b32 exec_lo, exec_lo, s5
	s_wait_loadcnt 0x0
	s_barrier_signal -1
	s_barrier_wait -1
	global_inv scope:SCOPE_SE
	s_and_saveexec_b32 s5, vcc_lo
; %bb.33:
	ds_store_b32 v3, v2
; %bb.34:
	s_wait_alu 0xfffe
	s_or_b32 exec_lo, exec_lo, s5
	v_cmp_lt_u32_e64 s5, 0xffffff03, v4
	s_wait_loadcnt_dscnt 0x0
	s_barrier_signal -1
	s_barrier_wait -1
	global_inv scope:SCOPE_SE
	s_and_saveexec_b32 s6, s5
	s_cbranch_execz .LBB2_36
; %bb.35:
	v_add_nc_u32_e32 v5, -16, v3
	ds_load_b32 v5, v5
	s_wait_dscnt 0x0
	v_add_nc_u32_e32 v2, v5, v2
.LBB2_36:
	s_wait_alu 0xfffe
	s_or_b32 exec_lo, exec_lo, s6
	s_wait_loadcnt 0x0
	s_barrier_signal -1
	s_barrier_wait -1
	global_inv scope:SCOPE_SE
	s_and_saveexec_b32 s6, vcc_lo
; %bb.37:
	ds_store_b32 v3, v2
; %bb.38:
	s_wait_alu 0xfffe
	s_or_b32 exec_lo, exec_lo, s6
	v_cmp_lt_u32_e64 s6, 0xffffff07, v4
	s_wait_loadcnt_dscnt 0x0
	s_barrier_signal -1
	s_barrier_wait -1
	global_inv scope:SCOPE_SE
	s_and_saveexec_b32 s7, s6
	s_cbranch_execz .LBB2_40
; %bb.39:
	v_subrev_nc_u32_e32 v5, 32, v3
	ds_load_b32 v5, v5
	s_wait_dscnt 0x0
	v_add_nc_u32_e32 v2, v5, v2
.LBB2_40:
	s_wait_alu 0xfffe
	s_or_b32 exec_lo, exec_lo, s7
	s_wait_loadcnt 0x0
	s_barrier_signal -1
	s_barrier_wait -1
	global_inv scope:SCOPE_SE
	s_and_saveexec_b32 s7, vcc_lo
; %bb.41:
	ds_store_b32 v3, v2
; %bb.42:
	s_wait_alu 0xfffe
	s_or_b32 exec_lo, exec_lo, s7
	v_cmp_lt_u32_e64 s7, 0xffffff0f, v4
	s_wait_loadcnt_dscnt 0x0
	s_barrier_signal -1
	s_barrier_wait -1
	global_inv scope:SCOPE_SE
	s_and_saveexec_b32 s8, s7
	s_cbranch_execz .LBB2_44
; %bb.43:
	v_subrev_nc_u32_e32 v5, 64, v3
	ds_load_b32 v5, v5
	s_wait_dscnt 0x0
	v_add_nc_u32_e32 v2, v5, v2
.LBB2_44:
	s_or_b32 exec_lo, exec_lo, s8
	s_wait_loadcnt 0x0
	s_barrier_signal -1
	s_barrier_wait -1
	global_inv scope:SCOPE_SE
	s_and_saveexec_b32 s8, vcc_lo
; %bb.45:
	ds_store_b32 v3, v2
; %bb.46:
	s_or_b32 exec_lo, exec_lo, s8
	v_cmp_lt_u32_e64 s8, 0xffffff1f, v4
	s_wait_loadcnt_dscnt 0x0
	s_barrier_signal -1
	s_barrier_wait -1
	global_inv scope:SCOPE_SE
	s_and_saveexec_b32 s9, s8
	s_cbranch_execz .LBB2_48
; %bb.47:
	v_add_nc_u32_e32 v5, 0xffffff80, v3
	ds_load_b32 v5, v5
	s_wait_dscnt 0x0
	v_add_nc_u32_e32 v2, v5, v2
.LBB2_48:
	s_or_b32 exec_lo, exec_lo, s9
	s_wait_loadcnt 0x0
	s_barrier_signal -1
	s_barrier_wait -1
	global_inv scope:SCOPE_SE
	s_and_saveexec_b32 s9, vcc_lo
; %bb.49:
	ds_store_b32 v3, v2
; %bb.50:
	s_or_b32 exec_lo, exec_lo, s9
	v_cmp_lt_u32_e64 s9, 0xffffff3f, v4
	s_wait_loadcnt_dscnt 0x0
	s_barrier_signal -1
	s_barrier_wait -1
	global_inv scope:SCOPE_SE
	s_and_saveexec_b32 s10, s9
	s_cbranch_execz .LBB2_52
; %bb.51:
	v_add_nc_u32_e32 v4, 0xffffff00, v3
	ds_load_b32 v4, v4
	s_wait_dscnt 0x0
	v_add_nc_u32_e32 v2, v4, v2
.LBB2_52:
	s_wait_alu 0xfffe
	s_or_b32 exec_lo, exec_lo, s10
	s_wait_loadcnt 0x0
	s_barrier_signal -1
	s_barrier_wait -1
	global_inv scope:SCOPE_SE
	s_and_saveexec_b32 s10, vcc_lo
; %bb.53:
	ds_store_b32 v3, v2
; %bb.54:
	s_wait_alu 0xfffe
	s_or_b32 exec_lo, exec_lo, s10
	v_and_b32_e32 v0, 0x380, v0
	s_wait_loadcnt_dscnt 0x0
	s_barrier_signal -1
	s_barrier_wait -1
	global_inv scope:SCOPE_SE
	v_cmp_eq_u32_e64 s10, 0x80, v0
	s_and_saveexec_b32 s11, s10
	s_cbranch_execz .LBB2_56
; %bb.55:
	v_add_nc_u32_e32 v0, 0xfffffe00, v3
	ds_load_b32 v0, v0
	s_wait_dscnt 0x0
	v_add_nc_u32_e32 v2, v0, v2
.LBB2_56:
	s_wait_alu 0xfffe
	s_or_b32 exec_lo, exec_lo, s11
	s_wait_loadcnt 0x0
	s_barrier_signal -1
	s_barrier_wait -1
	global_inv scope:SCOPE_SE
	s_and_saveexec_b32 s11, vcc_lo
; %bb.57:
	ds_store_b32 v3, v2
; %bb.58:
	s_wait_alu 0xfffe
	s_or_b32 exec_lo, exec_lo, s11
	s_wait_loadcnt_dscnt 0x0
	s_barrier_signal -1
	s_barrier_wait -1
	global_inv scope:SCOPE_SE
	s_wait_loadcnt 0x0
	s_barrier_signal -1
	s_barrier_wait -1
	global_inv scope:SCOPE_SE
	s_and_saveexec_b32 s11, vcc_lo
; %bb.59:
	v_sub_nc_u32_e32 v0, v2, v1
	ds_store_b32 v3, v0
; %bb.60:
	s_wait_alu 0xfffe
	s_or_b32 exec_lo, exec_lo, s11
	v_mov_b32_e32 v0, 0
	s_wait_loadcnt_dscnt 0x0
	s_barrier_signal -1
	s_barrier_wait -1
	global_inv scope:SCOPE_SE
	s_and_saveexec_b32 s11, vcc_lo
; %bb.61:
	ds_load_b32 v0, v3 offset:1024
; %bb.62:
	s_wait_alu 0xfffe
	s_or_b32 exec_lo, exec_lo, s11
	s_wait_dscnt 0x0
	v_mov_b32_e32 v1, v0
	s_and_saveexec_b32 s11, s4
	s_cbranch_execz .LBB2_64
; %bb.63:
	ds_load_b32 v1, v3 offset:1020
	s_wait_dscnt 0x0
	v_add_nc_u32_e32 v1, v1, v0
.LBB2_64:
	s_wait_alu 0xfffe
	s_or_b32 exec_lo, exec_lo, s11
	s_wait_loadcnt 0x0
	s_barrier_signal -1
	s_barrier_wait -1
	global_inv scope:SCOPE_SE
	s_and_saveexec_b32 s11, vcc_lo
; %bb.65:
	ds_store_b32 v3, v1 offset:1024
; %bb.66:
	s_wait_alu 0xfffe
	s_or_b32 exec_lo, exec_lo, s11
	s_wait_loadcnt_dscnt 0x0
	s_barrier_signal -1
	s_barrier_wait -1
	global_inv scope:SCOPE_SE
	s_and_saveexec_b32 s11, s3
	s_cbranch_execz .LBB2_68
; %bb.67:
	ds_load_b32 v2, v3 offset:1016
	s_wait_dscnt 0x0
	v_add_nc_u32_e32 v1, v2, v1
.LBB2_68:
	s_wait_alu 0xfffe
	s_or_b32 exec_lo, exec_lo, s11
	s_wait_loadcnt 0x0
	s_barrier_signal -1
	s_barrier_wait -1
	global_inv scope:SCOPE_SE
	s_and_saveexec_b32 s11, vcc_lo
; %bb.69:
	ds_store_b32 v3, v1 offset:1024
; %bb.70:
	s_wait_alu 0xfffe
	s_or_b32 exec_lo, exec_lo, s11
	s_wait_loadcnt_dscnt 0x0
	s_barrier_signal -1
	s_barrier_wait -1
	global_inv scope:SCOPE_SE
	;; [unrolled: 23-line block ×8, first 2 shown]
	s_wait_loadcnt 0x0
	s_barrier_signal -1
	s_barrier_wait -1
	global_inv scope:SCOPE_SE
	s_and_saveexec_b32 s11, vcc_lo
; %bb.95:
	v_sub_nc_u32_e32 v0, v1, v0
	ds_store_b32 v3, v0 offset:1024
; %bb.96:
	s_wait_alu 0xfffe
	s_or_b32 exec_lo, exec_lo, s11
	v_mov_b32_e32 v0, 0
	s_wait_loadcnt_dscnt 0x0
	s_barrier_signal -1
	s_barrier_wait -1
	global_inv scope:SCOPE_SE
	s_and_saveexec_b32 s11, vcc_lo
; %bb.97:
	ds_load_b32 v0, v3 offset:2048
; %bb.98:
	s_wait_alu 0xfffe
	s_or_b32 exec_lo, exec_lo, s11
	s_wait_dscnt 0x0
	v_mov_b32_e32 v1, v0
	s_and_saveexec_b32 s11, s4
	s_cbranch_execz .LBB2_100
; %bb.99:
	ds_load_b32 v1, v3 offset:2044
	s_wait_dscnt 0x0
	v_add_nc_u32_e32 v1, v1, v0
.LBB2_100:
	s_wait_alu 0xfffe
	s_or_b32 exec_lo, exec_lo, s11
	s_wait_loadcnt 0x0
	s_barrier_signal -1
	s_barrier_wait -1
	global_inv scope:SCOPE_SE
	s_and_saveexec_b32 s11, vcc_lo
; %bb.101:
	ds_store_b32 v3, v1 offset:2048
; %bb.102:
	s_wait_alu 0xfffe
	s_or_b32 exec_lo, exec_lo, s11
	s_wait_loadcnt_dscnt 0x0
	s_barrier_signal -1
	s_barrier_wait -1
	global_inv scope:SCOPE_SE
	s_and_saveexec_b32 s11, s3
	s_cbranch_execz .LBB2_104
; %bb.103:
	ds_load_b32 v2, v3 offset:2040
	s_wait_dscnt 0x0
	v_add_nc_u32_e32 v1, v2, v1
.LBB2_104:
	s_wait_alu 0xfffe
	s_or_b32 exec_lo, exec_lo, s11
	s_wait_loadcnt 0x0
	s_barrier_signal -1
	s_barrier_wait -1
	global_inv scope:SCOPE_SE
	s_and_saveexec_b32 s11, vcc_lo
; %bb.105:
	ds_store_b32 v3, v1 offset:2048
; %bb.106:
	s_wait_alu 0xfffe
	s_or_b32 exec_lo, exec_lo, s11
	s_wait_loadcnt_dscnt 0x0
	s_barrier_signal -1
	s_barrier_wait -1
	global_inv scope:SCOPE_SE
	;; [unrolled: 23-line block ×8, first 2 shown]
	s_wait_loadcnt 0x0
	s_barrier_signal -1
	s_barrier_wait -1
	global_inv scope:SCOPE_SE
	s_and_saveexec_b32 s11, vcc_lo
; %bb.131:
	v_sub_nc_u32_e32 v0, v1, v0
	ds_store_b32 v3, v0 offset:2048
; %bb.132:
	s_wait_alu 0xfffe
	s_or_b32 exec_lo, exec_lo, s11
	v_mov_b32_e32 v0, 0
	s_wait_loadcnt_dscnt 0x0
	s_barrier_signal -1
	s_barrier_wait -1
	global_inv scope:SCOPE_SE
	s_and_saveexec_b32 s11, vcc_lo
; %bb.133:
	ds_load_b32 v0, v3 offset:3072
; %bb.134:
	s_wait_alu 0xfffe
	s_or_b32 exec_lo, exec_lo, s11
	s_wait_dscnt 0x0
	v_mov_b32_e32 v1, v0
	s_and_saveexec_b32 s11, s4
	s_cbranch_execz .LBB2_136
; %bb.135:
	ds_load_b32 v1, v3 offset:3068
	s_wait_dscnt 0x0
	v_add_nc_u32_e32 v1, v1, v0
.LBB2_136:
	s_wait_alu 0xfffe
	s_or_b32 exec_lo, exec_lo, s11
	s_wait_loadcnt 0x0
	s_barrier_signal -1
	s_barrier_wait -1
	global_inv scope:SCOPE_SE
	s_and_saveexec_b32 s4, vcc_lo
; %bb.137:
	ds_store_b32 v3, v1 offset:3072
; %bb.138:
	s_wait_alu 0xfffe
	s_or_b32 exec_lo, exec_lo, s4
	s_wait_loadcnt_dscnt 0x0
	s_barrier_signal -1
	s_barrier_wait -1
	global_inv scope:SCOPE_SE
	s_and_saveexec_b32 s4, s3
	s_cbranch_execz .LBB2_140
; %bb.139:
	ds_load_b32 v2, v3 offset:3064
	s_wait_dscnt 0x0
	v_add_nc_u32_e32 v1, v2, v1
.LBB2_140:
	s_wait_alu 0xfffe
	s_or_b32 exec_lo, exec_lo, s4
	s_wait_loadcnt 0x0
	s_barrier_signal -1
	s_barrier_wait -1
	global_inv scope:SCOPE_SE
	s_and_saveexec_b32 s3, vcc_lo
; %bb.141:
	ds_store_b32 v3, v1 offset:3072
; %bb.142:
	s_or_b32 exec_lo, exec_lo, s3
	s_wait_loadcnt_dscnt 0x0
	s_barrier_signal -1
	s_barrier_wait -1
	global_inv scope:SCOPE_SE
	s_and_saveexec_b32 s3, s5
	s_cbranch_execz .LBB2_144
; %bb.143:
	ds_load_b32 v2, v3 offset:3056
	s_wait_dscnt 0x0
	v_add_nc_u32_e32 v1, v2, v1
.LBB2_144:
	s_or_b32 exec_lo, exec_lo, s3
	s_wait_loadcnt 0x0
	s_barrier_signal -1
	s_barrier_wait -1
	global_inv scope:SCOPE_SE
	s_and_saveexec_b32 s3, vcc_lo
; %bb.145:
	ds_store_b32 v3, v1 offset:3072
; %bb.146:
	s_or_b32 exec_lo, exec_lo, s3
	s_wait_loadcnt_dscnt 0x0
	s_barrier_signal -1
	s_barrier_wait -1
	global_inv scope:SCOPE_SE
	s_and_saveexec_b32 s3, s6
	s_cbranch_execz .LBB2_148
; %bb.147:
	ds_load_b32 v2, v3 offset:3040
	s_wait_dscnt 0x0
	v_add_nc_u32_e32 v1, v2, v1
.LBB2_148:
	;; [unrolled: 21-line block ×6, first 2 shown]
	s_or_b32 exec_lo, exec_lo, s3
	s_wait_loadcnt 0x0
	s_barrier_signal -1
	s_barrier_wait -1
	global_inv scope:SCOPE_SE
	s_and_saveexec_b32 s3, vcc_lo
; %bb.165:
	ds_store_b32 v3, v1 offset:3072
; %bb.166:
	s_or_b32 exec_lo, exec_lo, s3
	s_wait_loadcnt_dscnt 0x0
	s_barrier_signal -1
	s_barrier_wait -1
	global_inv scope:SCOPE_SE
	s_wait_loadcnt 0x0
	s_barrier_signal -1
	s_barrier_wait -1
	global_inv scope:SCOPE_SE
	s_and_saveexec_b32 s3, vcc_lo
; %bb.167:
	v_sub_nc_u32_e32 v0, v1, v0
	ds_store_b32 v3, v0 offset:3072
; %bb.168:
	s_or_b32 exec_lo, exec_lo, s3
	s_wait_loadcnt_dscnt 0x0
	s_barrier_signal -1
	s_barrier_wait -1
	global_inv scope:SCOPE_SE
	s_and_saveexec_b32 s3, s2
	s_cbranch_execz .LBB2_170
; %bb.169:
	s_load_b64 s[0:1], s[0:1], 0x10
	ds_load_b32 v0, v3
	s_wait_dscnt 0x0
	s_wait_kmcnt 0x0
	global_atomic_add_u32 v3, v0, s[0:1] scope:SCOPE_DEV
	ds_load_b32 v0, v3 offset:1024
	s_wait_dscnt 0x0
	global_atomic_add_u32 v3, v0, s[0:1] offset:1024 scope:SCOPE_DEV
	ds_load_b32 v0, v3 offset:2048
	s_wait_dscnt 0x0
	global_atomic_add_u32 v3, v0, s[0:1] offset:2048 scope:SCOPE_DEV
	;; [unrolled: 3-line block ×3, first 2 shown]
.LBB2_170:
	s_endpgm
	.section	.rodata,"a",@progbits
	.p2align	6, 0x0
	.amdhsa_kernel GHistogram
		.amdhsa_group_segment_fixed_size 4100
		.amdhsa_private_segment_fixed_size 0
		.amdhsa_kernarg_size 40
		.amdhsa_user_sgpr_count 2
		.amdhsa_user_sgpr_dispatch_ptr 0
		.amdhsa_user_sgpr_queue_ptr 0
		.amdhsa_user_sgpr_kernarg_segment_ptr 1
		.amdhsa_user_sgpr_dispatch_id 0
		.amdhsa_user_sgpr_private_segment_size 0
		.amdhsa_wavefront_size32 1
		.amdhsa_uses_dynamic_stack 0
		.amdhsa_enable_private_segment 0
		.amdhsa_system_sgpr_workgroup_id_x 1
		.amdhsa_system_sgpr_workgroup_id_y 0
		.amdhsa_system_sgpr_workgroup_id_z 0
		.amdhsa_system_sgpr_workgroup_info 0
		.amdhsa_system_vgpr_workitem_id 0
		.amdhsa_next_free_vgpr 10
		.amdhsa_next_free_sgpr 15
		.amdhsa_reserve_vcc 1
		.amdhsa_float_round_mode_32 0
		.amdhsa_float_round_mode_16_64 0
		.amdhsa_float_denorm_mode_32 3
		.amdhsa_float_denorm_mode_16_64 3
		.amdhsa_fp16_overflow 0
		.amdhsa_workgroup_processor_mode 1
		.amdhsa_memory_ordered 1
		.amdhsa_forward_progress 1
		.amdhsa_inst_pref_size 42
		.amdhsa_round_robin_scheduling 0
		.amdhsa_exception_fp_ieee_invalid_op 0
		.amdhsa_exception_fp_denorm_src 0
		.amdhsa_exception_fp_ieee_div_zero 0
		.amdhsa_exception_fp_ieee_overflow 0
		.amdhsa_exception_fp_ieee_underflow 0
		.amdhsa_exception_fp_ieee_inexact 0
		.amdhsa_exception_int_div_zero 0
	.end_amdhsa_kernel
	.text
.Lfunc_end2:
	.size	GHistogram, .Lfunc_end2-GHistogram
                                        ; -- End function
	.set GHistogram.num_vgpr, 10
	.set GHistogram.num_agpr, 0
	.set GHistogram.numbered_sgpr, 15
	.set GHistogram.num_named_barrier, 0
	.set GHistogram.private_seg_size, 0
	.set GHistogram.uses_vcc, 1
	.set GHistogram.uses_flat_scratch, 0
	.set GHistogram.has_dyn_sized_stack, 0
	.set GHistogram.has_recursion, 0
	.set GHistogram.has_indirect_call, 0
	.section	.AMDGPU.csdata,"",@progbits
; Kernel info:
; codeLenInByte = 5360
; TotalNumSgprs: 17
; NumVgprs: 10
; ScratchSize: 0
; MemoryBound: 0
; FloatMode: 240
; IeeeMode: 1
; LDSByteSize: 4100 bytes/workgroup (compile time only)
; SGPRBlocks: 0
; VGPRBlocks: 1
; NumSGPRsForWavesPerEU: 17
; NumVGPRsForWavesPerEU: 10
; Occupancy: 16
; WaveLimiterHint : 1
; COMPUTE_PGM_RSRC2:SCRATCH_EN: 0
; COMPUTE_PGM_RSRC2:USER_SGPR: 2
; COMPUTE_PGM_RSRC2:TRAP_HANDLER: 0
; COMPUTE_PGM_RSRC2:TGID_X_EN: 1
; COMPUTE_PGM_RSRC2:TGID_Y_EN: 0
; COMPUTE_PGM_RSRC2:TGID_Z_EN: 0
; COMPUTE_PGM_RSRC2:TIDIG_COMP_CNT: 0
	.text
	.protected	OnesweepReorderKey64    ; -- Begin function OnesweepReorderKey64
	.globl	OnesweepReorderKey64
	.p2align	8
	.type	OnesweepReorderKey64,@function
OnesweepReorderKey64:                   ; @OnesweepReorderKey64
; %bb.0:
	s_clause 0x1
	s_load_b32 s14, s[0:1], 0x10
	s_load_b128 s[4:7], s[0:1], 0x0
	v_lshrrev_b32_e32 v18, 5, v0
	s_lshl_b32 s15, ttmp9, 12
	v_dual_mov_b32 v1, 0 :: v_dual_and_b32 v42, 31, v0
	v_lshlrev_b32_e32 v43, 1, v0
	s_delay_alu instid0(VALU_DEP_3) | instskip(SKIP_1) | instid1(VALU_DEP_3)
	v_lshl_or_b32 v41, v18, 9, s15
	s_mov_b32 s2, exec_lo
	v_dual_mov_b32 v2, v1 :: v_dual_mov_b32 v3, v1
	v_mov_b32_e32 v4, v1
	s_delay_alu instid0(VALU_DEP_3)
	v_or_b32_e32 v33, v41, v42
	v_dual_mov_b32 v5, v1 :: v_dual_mov_b32 v6, v1
	v_dual_mov_b32 v7, v1 :: v_dual_mov_b32 v8, v1
	;; [unrolled: 1-line block ×6, first 2 shown]
	ds_store_b16 v43, v1 offset:512
	ds_store_b16 v43, v1 offset:1024
	;; [unrolled: 1-line block ×8, first 2 shown]
	s_wait_dscnt 0x0
	s_barrier_signal -1
	s_barrier_wait -1
	global_inv scope:SCOPE_SE
	s_wait_kmcnt 0x0
	v_cmpx_gt_u32_e64 s14, v33
	s_cbranch_execz .LBB3_2
; %bb.1:
	v_mov_b32_e32 v34, v1
	v_dual_mov_b32 v16, v1 :: v_dual_mov_b32 v17, v1
	v_dual_mov_b32 v4, v1 :: v_dual_mov_b32 v5, v1
	s_delay_alu instid0(VALU_DEP_3) | instskip(SKIP_3) | instid1(VALU_DEP_4)
	v_lshlrev_b64_e32 v[2:3], 2, v[33:34]
	v_dual_mov_b32 v6, v1 :: v_dual_mov_b32 v7, v1
	v_dual_mov_b32 v8, v1 :: v_dual_mov_b32 v9, v1
	;; [unrolled: 1-line block ×3, first 2 shown]
	v_add_co_u32 v2, vcc_lo, s4, v2
	s_delay_alu instid0(VALU_DEP_1)
	v_add_co_ci_u32_e64 v3, null, s5, v3, vcc_lo
	v_dual_mov_b32 v12, v1 :: v_dual_mov_b32 v13, v1
	v_dual_mov_b32 v14, v1 :: v_dual_mov_b32 v15, v1
	global_load_b32 v2, v[2:3], off
	v_mov_b32_e32 v3, v1
	s_wait_loadcnt 0x0
	v_mov_b32_e32 v1, v2
	s_delay_alu instid0(VALU_DEP_2)
	v_mov_b32_e32 v2, v3
	v_mov_b32_e32 v3, v4
	;; [unrolled: 1-line block ×15, first 2 shown]
.LBB3_2:
	s_or_b32 exec_lo, exec_lo, s2
	v_or_b32_e32 v17, 32, v33
	s_mov_b32 s2, exec_lo
	s_delay_alu instid0(VALU_DEP_1)
	v_cmpx_gt_u32_e64 s14, v17
	s_cbranch_execz .LBB3_4
; %bb.3:
	v_mov_b32_e32 v34, 0
	s_delay_alu instid0(VALU_DEP_1) | instskip(NEXT) | instid1(VALU_DEP_1)
	v_lshlrev_b64_e32 v[19:20], 2, v[33:34]
	v_add_co_u32 v19, vcc_lo, s4, v19
	s_wait_alu 0xfffd
	s_delay_alu instid0(VALU_DEP_2)
	v_add_co_ci_u32_e64 v20, null, s5, v20, vcc_lo
	global_load_b32 v2, v[19:20], off offset:128
.LBB3_4:
	s_or_b32 exec_lo, exec_lo, s2
	v_or_b32_e32 v17, 64, v33
	s_mov_b32 s2, exec_lo
	s_delay_alu instid0(VALU_DEP_1)
	v_cmpx_gt_u32_e64 s14, v17
	s_cbranch_execz .LBB3_6
; %bb.5:
	v_mov_b32_e32 v34, 0
	s_delay_alu instid0(VALU_DEP_1) | instskip(NEXT) | instid1(VALU_DEP_1)
	v_lshlrev_b64_e32 v[19:20], 2, v[33:34]
	v_add_co_u32 v19, vcc_lo, s4, v19
	s_wait_alu 0xfffd
	s_delay_alu instid0(VALU_DEP_2)
	v_add_co_ci_u32_e64 v20, null, s5, v20, vcc_lo
	global_load_b32 v3, v[19:20], off offset:256
.LBB3_6:
	;; [unrolled: 16-line block ×15, first 2 shown]
	s_or_b32 exec_lo, exec_lo, s2
	s_load_b64 s[4:5], s[0:1], 0x30
	v_lshlrev_b32_e64 v19, v42, -1
	v_dual_mov_b32 v17, 0 :: v_dual_lshlrev_b32 v44, 1, v18
	s_mov_b64 s[8:9], 0
	s_delay_alu instid0(VALU_DEP_2) | instskip(NEXT) | instid1(VALU_DEP_2)
	v_not_b32_e32 v34, v19
	v_dual_mov_b32 v18, v17 :: v_dual_mov_b32 v19, v17
	v_dual_mov_b32 v20, v17 :: v_dual_mov_b32 v21, v17
	;; [unrolled: 1-line block ×7, first 2 shown]
	v_mov_b32_e32 v32, v17
	s_wait_kmcnt 0x0
	s_lshl_b32 s2, s5, 3
	s_delay_alu instid0(SALU_CYCLE_1)
	s_add_co_i32 s4, s2, s4
	s_branch .LBB3_34
.LBB3_33:                               ;   in Loop: Header=BB3_34 Depth=1
	s_wait_alu 0xfffe
	s_or_b32 exec_lo, exec_lo, s2
	v_and_b32_e32 v36, v37, v34
	v_and_b32_e32 v35, 0xffff, v35
	v_add_nc_u32_e32 v33, 32, v33
	s_mov_b32 m0, s8
	s_add_nc_u64 s[8:9], s[8:9], 1
	v_bcnt_u32_b32 v36, v36, 0
	s_cmp_eq_u32 s8, 16
	s_wait_loadcnt_dscnt 0x0
	s_barrier_signal -1
	s_barrier_wait -1
	v_add_nc_u32_e32 v35, v36, v35
	global_inv scope:SCOPE_SE
	v_movreld_b32_e32 v17, v35
	s_cbranch_scc1 .LBB3_36
.LBB3_34:                               ; =>This Inner Loop Header: Depth=1
	s_mov_b32 m0, s8
	v_cmp_gt_u32_e32 vcc_lo, s14, v33
	s_wait_loadcnt 0x0
	v_movrels_b32_e32 v35, v1
	s_wait_alu 0xfffe
	s_delay_alu instid0(VALU_DEP_1) | instskip(SKIP_2) | instid1(VALU_DEP_3)
	v_bfe_u32 v36, v35, s4, 1
	v_lshrrev_b32_e32 v37, s4, v35
	v_bfe_u32 v35, v35, s4, 8
	v_add_co_u32 v36, s2, v36, -1
	s_wait_alu 0xf1ff
	v_cndmask_b32_e64 v38, 0, 1, s2
	v_bfe_u32 v39, v37, 1, 1
	v_bfe_u32 v40, v37, 2, 1
	;; [unrolled: 1-line block ×4, first 2 shown]
	v_cmp_ne_u32_e64 s2, 0, v38
	v_add_co_u32 v38, s3, v39, -1
	s_wait_alu 0xf1ff
	v_cndmask_b32_e64 v39, 0, 1, s3
	v_add_co_u32 v40, s3, v40, -1
	v_xor_b32_e32 v36, s2, v36
	s_wait_alu 0xf1ff
	v_cndmask_b32_e64 v47, 0, 1, s3
	v_cmp_ne_u32_e64 s2, 0, v39
	v_add_co_u32 v39, s3, v45, -1
	s_wait_alu 0xfffd
	v_and_b32_e32 v36, vcc_lo, v36
	s_wait_alu 0xf1ff
	v_cndmask_b32_e64 v45, 0, 1, s3
	v_xor_b32_e32 v38, s2, v38
	v_cmp_ne_u32_e64 s3, 0, v47
	v_add_co_u32 v46, s2, v46, -1
	s_wait_alu 0xf1ff
	v_cndmask_b32_e64 v47, 0, 1, s2
	v_and_b32_e32 v36, v36, v38
	v_bfe_u32 v38, v37, 5, 1
	v_cmp_ne_u32_e32 vcc_lo, 0, v45
	v_xor_b32_e32 v40, s3, v40
	v_cmp_ne_u32_e64 s2, 0, v47
	v_bfe_u32 v45, v37, 6, 1
	v_add_co_u32 v38, s3, v38, -1
	s_wait_alu 0xfffd
	v_xor_b32_e32 v39, vcc_lo, v39
	v_and_b32_e32 v36, v36, v40
	s_wait_alu 0xf1ff
	v_cndmask_b32_e64 v40, 0, 1, s3
	v_xor_b32_e32 v46, s2, v46
	v_bfe_u32 v37, v37, 7, 1
	v_and_b32_e32 v36, v36, v39
	s_delay_alu instid0(VALU_DEP_4)
	v_cmp_ne_u32_e32 vcc_lo, 0, v40
	v_add_co_u32 v39, s2, v45, -1
	s_wait_alu 0xf1ff
	v_cndmask_b32_e64 v40, 0, 1, s2
	v_and_b32_e32 v36, v36, v46
	s_wait_alu 0xfffd
	v_xor_b32_e32 v38, vcc_lo, v38
	s_delay_alu instid0(VALU_DEP_3) | instskip(NEXT) | instid1(VALU_DEP_2)
	v_cmp_ne_u32_e32 vcc_lo, 0, v40
	v_and_b32_e32 v38, v36, v38
	v_lshlrev_b32_e32 v36, 4, v35
	s_wait_alu 0xfffd
	v_xor_b32_e32 v39, vcc_lo, v39
	v_cmp_lt_u32_e32 vcc_lo, 0x7f, v35
	v_add_nc_u32_e32 v35, -1, v37
	v_or_b32_e32 v37, v44, v36
	s_delay_alu instid0(VALU_DEP_4) | instskip(SKIP_1) | instid1(VALU_DEP_3)
	v_and_b32_e32 v38, v38, v39
	s_wait_alu 0xfffd
	v_xor_b32_e32 v39, vcc_lo, v35
	ds_load_u16 v35, v37 offset:512
	s_wait_dscnt 0x0
	s_barrier_signal -1
	s_barrier_wait -1
	v_and_b32_e32 v37, v38, v39
	global_inv scope:SCOPE_SE
	v_ctz_i32_b32_e32 v38, v37
	v_cmp_ne_u32_e32 vcc_lo, 0, v37
	s_delay_alu instid0(VALU_DEP_2)
	v_cmp_eq_u32_e64 s2, v38, v42
	s_and_b32 s3, vcc_lo, s2
	s_wait_alu 0xfffe
	s_and_saveexec_b32 s2, s3
	s_cbranch_execz .LBB3_33
; %bb.35:                               ;   in Loop: Header=BB3_34 Depth=1
	v_bcnt_u32_b32 v38, v37, v35
	v_add_nc_u32_e32 v36, v44, v36
	ds_store_b16 v36, v38 offset:512
	s_branch .LBB3_33
.LBB3_36:
	v_cmp_gt_u32_e32 vcc_lo, 0x100, v0
	s_wait_loadcnt 0x0
	s_barrier_signal -1
	s_barrier_wait -1
	global_inv scope:SCOPE_SE
	s_and_saveexec_b32 s2, vcc_lo
	s_cbranch_execz .LBB3_38
; %bb.37:
	v_lshlrev_b32_e32 v37, 4, v0
	ds_load_2addr_b32 v[33:34], v37 offset0:130 offset1:131
	ds_load_2addr_b32 v[35:36], v37 offset0:128 offset1:129
	s_wait_dscnt 0x0
	v_pk_add_u16 v34, v36, v34
	v_pk_add_u16 v33, v35, v33
	s_delay_alu instid0(VALU_DEP_1) | instskip(NEXT) | instid1(VALU_DEP_1)
	v_pk_add_u16 v33, v33, v34
	v_lshrrev_b32_e32 v34, 16, v33
	s_delay_alu instid0(VALU_DEP_1)
	v_add_nc_u16 v33, v33, v34
	v_mad_i32_i24 v34, v0, -14, v37
	ds_store_b16 v34, v33
.LBB3_38:
	s_wait_alu 0xfffe
	s_or_b32 exec_lo, exec_lo, s2
	s_clause 0x1
	s_load_b128 s[8:11], s[0:1], 0x18
	s_load_b64 s[12:13], s[0:1], 0x28
	v_cmp_eq_u32_e64 s0, 0, v0
	s_cmp_gt_u32 ttmp9, 0x3ff
	s_cselect_b32 s1, -1, 0
	s_delay_alu instid0(SALU_CYCLE_1) | instskip(NEXT) | instid1(SALU_CYCLE_1)
	s_and_b32 s1, s0, s1
	s_and_saveexec_b32 s2, s1
	s_cbranch_execz .LBB3_43
; %bb.39:
	v_mov_b32_e32 v33, 0
	s_branch .LBB3_41
.LBB3_40:                               ;   in Loop: Header=BB3_41 Depth=1
	s_wait_alu 0xfffe
	s_or_b32 exec_lo, exec_lo, s3
	s_wait_loadcnt 0x0
	v_readfirstlane_b32 s1, v34
	s_and_not1_b32 s1, s1, 31
	s_delay_alu instid0(SALU_CYCLE_1) | instskip(NEXT) | instid1(SALU_CYCLE_1)
	s_addk_co_i32 s1, 0x3c0
	s_cmp_le_u32 s1, ttmp9
	s_cbranch_scc0 .LBB3_43
.LBB3_41:                               ; =>This Inner Loop Header: Depth=1
	v_mbcnt_lo_u32_b32 v34, exec_lo, 0
	s_delay_alu instid0(VALU_DEP_1)
	v_cmp_eq_u32_e64 s1, 0, v34
                                        ; implicit-def: $vgpr34
	s_and_saveexec_b32 s3, s1
	s_cbranch_execz .LBB3_40
; %bb.42:                               ;   in Loop: Header=BB3_41 Depth=1
	s_wait_kmcnt 0x0
	global_load_b32 v34, v33, s[12:13] scope:SCOPE_DEV
	s_branch .LBB3_40
.LBB3_43:
	s_wait_alu 0xfffe
	s_or_b32 exec_lo, exec_lo, s2
	s_wait_loadcnt_dscnt 0x0
	s_barrier_signal -1
	s_barrier_wait -1
	global_inv scope:SCOPE_SE
	s_and_saveexec_b32 s3, vcc_lo
	s_cbranch_execz .LBB3_51
; %bb.44:
	s_lshl_b32 s1, ttmp9, 8
	ds_load_u16 v33, v43
	v_and_or_b32 v34, 0x3ff00, s1, v0
	v_mov_b32_e32 v36, 0
	v_lshl_or_b32 v35, s5, 8, v0
	s_and_b32 s17, ttmp9, 0x3fffffff
	s_mov_b32 s16, ttmp9
	v_lshlrev_b32_e32 v37, 3, v34
	s_or_b32 s1, s17, 2.0
	v_lshlrev_b64_e32 v[39:40], 2, v[35:36]
	s_wait_alu 0xfffe
	v_mov_b32_e32 v34, s1
	s_mov_b32 s5, 0
	s_wait_kmcnt 0x0
	v_add_co_u32 v37, s1, s10, v37
	s_wait_alu 0xf1ff
	v_add_co_ci_u32_e64 v38, null, s11, 0, s1
	v_add_co_u32 v39, s1, s8, v39
	s_wait_alu 0xf1ff
	v_add_co_ci_u32_e64 v40, null, s9, v40, s1
                                        ; implicit-def: $sgpr1
	s_wait_loadcnt_dscnt 0x0
	flat_store_b64 v[37:38], v[33:34] scope:SCOPE_SYS
	s_wait_storecnt 0x0
	global_load_b32 v45, v[39:40], off
	s_branch .LBB3_46
.LBB3_45:                               ;   in Loop: Header=BB3_46 Depth=1
                                        ; implicit-def: $sgpr16
	s_wait_alu 0xfffe
	s_and_b32 s2, exec_lo, s1
	s_wait_alu 0xfffe
	s_or_b32 s5, s2, s5
	s_wait_alu 0xfffe
	s_and_not1_b32 exec_lo, exec_lo, s5
	s_cbranch_execz .LBB3_50
.LBB3_46:                               ; =>This Loop Header: Depth=1
                                        ;     Child Loop BB3_48 Depth 2
	s_or_b32 s1, s1, exec_lo
	s_cmp_lt_i32 s16, 1
	s_cbranch_scc1 .LBB3_45
; %bb.47:                               ;   in Loop: Header=BB3_46 Depth=1
	s_add_co_i32 s16, s16, -1
	s_mov_b32 s9, 0
	s_wait_alu 0xfffe
	s_lshl_b32 s1, s16, 8
	s_wait_alu 0xfffe
	v_and_or_b32 v34, 0x3ff00, s1, v0
	s_sub_co_i32 s1, ttmp9, s16
	s_wait_alu 0xfffe
	s_cmp_eq_u32 s1, 64
	s_cselect_b32 s8, 2, 3
	v_lshlrev_b32_e32 v34, 3, v34
	s_delay_alu instid0(VALU_DEP_1)
	v_add_co_u32 v34, s1, s10, v34
	s_wait_alu 0xf1ff
	v_add_co_ci_u32_e64 v35, null, s11, 0, s1
.LBB3_48:                               ;   Parent Loop BB3_46 Depth=1
                                        ; =>  This Inner Loop Header: Depth=2
	flat_load_b64 v[39:40], v[34:35] scope:SCOPE_SYS
	s_wait_loadcnt_dscnt 0x0
	v_lshrrev_b32_e32 v46, 30, v40
	v_and_b32_e32 v40, 0x3fffffff, v40
	s_wait_alu 0xfffe
	s_delay_alu instid0(VALU_DEP_2) | instskip(NEXT) | instid1(VALU_DEP_2)
	v_and_b32_e32 v47, s8, v46
	v_cmp_eq_u32_e64 s2, s16, v40
	s_delay_alu instid0(VALU_DEP_2)
	v_cmp_ne_u32_e64 s1, 0, v47
	s_and_b32 s1, s1, s2
	s_wait_alu 0xfffe
	s_and_b32 s1, exec_lo, s1
	s_wait_alu 0xfffe
	s_or_b32 s9, s1, s9
	s_wait_alu 0xfffe
	s_and_not1_b32 exec_lo, exec_lo, s9
	s_cbranch_execnz .LBB3_48
; %bb.49:                               ;   in Loop: Header=BB3_46 Depth=1
	s_or_b32 exec_lo, exec_lo, s9
	v_add_nc_u32_e32 v36, v36, v39
	v_cmp_eq_u32_e64 s1, 2, v46
	s_and_b32 s2, exec_lo, s1
	s_wait_alu 0xfffe
	s_or_b32 s5, s2, s5
	s_wait_alu 0xfffe
	s_and_not1_b32 exec_lo, exec_lo, s5
	s_cbranch_execnz .LBB3_46
.LBB3_50:
	s_or_b32 exec_lo, exec_lo, s5
	s_bitset1_b32 s17, 31
	s_wait_alu 0xfffe
	v_dual_mov_b32 v34, s17 :: v_dual_add_nc_u32 v33, v36, v33
	s_wait_loadcnt 0x0
	v_add_nc_u32_e32 v35, v36, v45
	v_lshlrev_b32_e32 v36, 2, v0
	flat_store_b64 v[37:38], v[33:34] scope:SCOPE_SYS
	s_wait_storecnt 0x0
	ds_store_b32 v36, v35 offset:20480
.LBB3_51:
	s_wait_alu 0xfffe
	s_or_b32 exec_lo, exec_lo, s3
; %bb.52:
	s_wait_loadcnt_dscnt 0x0
	s_barrier_signal -1
	s_barrier_wait -1
	global_inv scope:SCOPE_SE
	s_and_saveexec_b32 s1, s0
	s_cbranch_execz .LBB3_58
; %bb.53:
	v_mov_b32_e32 v33, 0
	s_branch .LBB3_55
.LBB3_54:                               ;   in Loop: Header=BB3_55 Depth=1
	s_wait_alu 0xfffe
	s_or_b32 exec_lo, exec_lo, s2
	s_wait_loadcnt 0x0
	v_readfirstlane_b32 s0, v34
	s_xor_b32 s0, s0, ttmp9
	s_wait_alu 0xfffe
	s_cmp_gt_u32 s0, 31
	s_cbranch_scc0 .LBB3_57
.LBB3_55:                               ; =>This Inner Loop Header: Depth=1
	v_mbcnt_lo_u32_b32 v34, exec_lo, 0
	s_delay_alu instid0(VALU_DEP_1)
	v_cmp_eq_u32_e64 s0, 0, v34
                                        ; implicit-def: $vgpr34
	s_and_saveexec_b32 s2, s0
	s_cbranch_execz .LBB3_54
; %bb.56:                               ;   in Loop: Header=BB3_55 Depth=1
	s_wait_kmcnt 0x0
	global_load_b32 v34, v33, s[12:13] scope:SCOPE_DEV
	s_branch .LBB3_54
.LBB3_57:
	s_add_co_i32 s0, s14, 0xfff
	s_wait_alu 0xfffe
	s_lshr_b32 s0, s0, 12
	s_wait_alu 0xfffe
	s_add_co_i32 s0, s0, -1
	s_wait_alu 0xfffe
	v_dual_mov_b32 v33, 0 :: v_dual_mov_b32 v34, s0
	s_wait_kmcnt 0x0
	global_atomic_inc_u32 v33, v34, s[12:13] scope:SCOPE_DEV
.LBB3_58:
	s_wait_alu 0xfffe
	s_or_b32 exec_lo, exec_lo, s1
	v_cmp_gt_u32_e64 s0, 0x100, v0
	v_mov_b32_e32 v33, 0
	s_wait_loadcnt 0x0
	s_wait_storecnt 0x0
	s_barrier_signal -1
	s_barrier_wait -1
	global_inv scope:SCOPE_SE
	s_and_saveexec_b32 s1, s0
; %bb.59:
	ds_load_u16 v33, v43
; %bb.60:
	s_wait_alu 0xfffe
	s_or_b32 exec_lo, exec_lo, s1
	v_or_b32_e32 v35, 0xffffff00, v0
	s_wait_dscnt 0x0
	v_mov_b32_e32 v34, v33
	s_mov_b32 s2, exec_lo
	s_delay_alu instid0(VALU_DEP_2)
	v_cmpx_lt_u32_e32 0xffffff00, v35
	s_cbranch_execz .LBB3_62
; %bb.61:
	v_add_nc_u32_e32 v34, -2, v43
	ds_load_u16 v34, v34
	s_wait_dscnt 0x0
	v_add_nc_u16 v34, v34, v33
.LBB3_62:
	s_wait_alu 0xfffe
	s_or_b32 exec_lo, exec_lo, s2
	s_wait_loadcnt 0x0
	s_barrier_signal -1
	s_barrier_wait -1
	global_inv scope:SCOPE_SE
	s_and_saveexec_b32 s1, s0
; %bb.63:
	ds_store_b16 v43, v34
; %bb.64:
	s_wait_alu 0xfffe
	s_or_b32 exec_lo, exec_lo, s1
	s_delay_alu instid0(SALU_CYCLE_1)
	s_mov_b32 s2, exec_lo
	s_wait_loadcnt_dscnt 0x0
	s_barrier_signal -1
	s_barrier_wait -1
	global_inv scope:SCOPE_SE
	v_cmpx_lt_u32_e32 0xffffff01, v35
	s_cbranch_execz .LBB3_66
; %bb.65:
	v_add_nc_u32_e32 v36, -4, v43
	ds_load_u16 v36, v36
	s_wait_dscnt 0x0
	v_add_nc_u16 v34, v36, v34
.LBB3_66:
	s_wait_alu 0xfffe
	s_or_b32 exec_lo, exec_lo, s2
	s_wait_loadcnt 0x0
	s_barrier_signal -1
	s_barrier_wait -1
	global_inv scope:SCOPE_SE
	s_and_saveexec_b32 s1, s0
; %bb.67:
	ds_store_b16 v43, v34
; %bb.68:
	s_wait_alu 0xfffe
	s_or_b32 exec_lo, exec_lo, s1
	s_delay_alu instid0(SALU_CYCLE_1)
	s_mov_b32 s2, exec_lo
	s_wait_loadcnt_dscnt 0x0
	s_barrier_signal -1
	s_barrier_wait -1
	global_inv scope:SCOPE_SE
	;; [unrolled: 26-line block ×4, first 2 shown]
	v_cmpx_lt_u32_e32 0xffffff0f, v35
	s_cbranch_execz .LBB3_78
; %bb.77:
	v_subrev_nc_u32_e32 v36, 32, v43
	ds_load_u16 v36, v36
	s_wait_dscnt 0x0
	v_add_nc_u16 v34, v36, v34
.LBB3_78:
	s_wait_alu 0xfffe
	s_or_b32 exec_lo, exec_lo, s2
	s_wait_loadcnt 0x0
	s_barrier_signal -1
	s_barrier_wait -1
	global_inv scope:SCOPE_SE
	s_and_saveexec_b32 s1, s0
; %bb.79:
	ds_store_b16 v43, v34
; %bb.80:
	s_wait_alu 0xfffe
	s_or_b32 exec_lo, exec_lo, s1
	s_delay_alu instid0(SALU_CYCLE_1)
	s_mov_b32 s2, exec_lo
	s_wait_loadcnt_dscnt 0x0
	s_barrier_signal -1
	s_barrier_wait -1
	global_inv scope:SCOPE_SE
	v_cmpx_lt_u32_e32 0xffffff1f, v35
	s_cbranch_execz .LBB3_82
; %bb.81:
	v_subrev_nc_u32_e32 v36, 64, v43
	ds_load_u16 v36, v36
	s_wait_dscnt 0x0
	v_add_nc_u16 v34, v36, v34
.LBB3_82:
	s_wait_alu 0xfffe
	s_or_b32 exec_lo, exec_lo, s2
	s_wait_loadcnt 0x0
	s_barrier_signal -1
	s_barrier_wait -1
	global_inv scope:SCOPE_SE
	s_and_saveexec_b32 s1, s0
; %bb.83:
	ds_store_b16 v43, v34
; %bb.84:
	s_wait_alu 0xfffe
	s_or_b32 exec_lo, exec_lo, s1
	s_delay_alu instid0(SALU_CYCLE_1)
	s_mov_b32 s2, exec_lo
	s_wait_loadcnt_dscnt 0x0
	s_barrier_signal -1
	s_barrier_wait -1
	global_inv scope:SCOPE_SE
	v_cmpx_lt_u32_e32 0xffffff3f, v35
	s_cbranch_execz .LBB3_86
; %bb.85:
	v_add_nc_u32_e32 v35, 0xffffff80, v43
	ds_load_u16 v35, v35
	s_wait_dscnt 0x0
	v_add_nc_u16 v34, v35, v34
.LBB3_86:
	s_wait_alu 0xfffe
	s_or_b32 exec_lo, exec_lo, s2
	s_wait_loadcnt 0x0
	s_barrier_signal -1
	s_barrier_wait -1
	global_inv scope:SCOPE_SE
	s_and_saveexec_b32 s1, s0
; %bb.87:
	ds_store_b16 v43, v34
; %bb.88:
	s_wait_alu 0xfffe
	s_or_b32 exec_lo, exec_lo, s1
	v_and_b32_e32 v35, 0x80, v0
	s_mov_b32 s2, exec_lo
	s_wait_loadcnt_dscnt 0x0
	s_barrier_signal -1
	s_barrier_wait -1
	global_inv scope:SCOPE_SE
	v_cmpx_ne_u32_e32 0, v35
	s_cbranch_execz .LBB3_90
; %bb.89:
	v_add_nc_u32_e32 v35, 0xffffff00, v43
	ds_load_u16 v35, v35
	s_wait_dscnt 0x0
	v_add_nc_u16 v34, v35, v34
.LBB3_90:
	s_wait_alu 0xfffe
	s_or_b32 exec_lo, exec_lo, s2
	s_wait_loadcnt 0x0
	s_barrier_signal -1
	s_barrier_wait -1
	global_inv scope:SCOPE_SE
	s_and_saveexec_b32 s1, s0
; %bb.91:
	ds_store_b16 v43, v34
; %bb.92:
	s_wait_alu 0xfffe
	s_or_b32 exec_lo, exec_lo, s1
	s_wait_loadcnt_dscnt 0x0
	s_barrier_signal -1
	s_barrier_wait -1
	global_inv scope:SCOPE_SE
	s_wait_loadcnt 0x0
	s_barrier_signal -1
	s_barrier_wait -1
	global_inv scope:SCOPE_SE
	s_and_saveexec_b32 s1, s0
; %bb.93:
	v_sub_nc_u16 v33, v34, v33
	ds_store_b16 v43, v33
; %bb.94:
	s_wait_alu 0xfffe
	s_or_b32 exec_lo, exec_lo, s1
	v_lshlrev_b32_e32 v33, 2, v0
	s_wait_loadcnt_dscnt 0x0
	s_barrier_signal -1
	s_barrier_wait -1
	global_inv scope:SCOPE_SE
	s_and_saveexec_b32 s0, vcc_lo
	s_cbranch_execz .LBB3_96
; %bb.95:
	v_mad_u32_u24 v37, v0, 14, v43
	v_lshlrev_b32_e32 v39, 2, v0
	ds_load_u16 v38, v43
	ds_load_2addr_b32 v[34:35], v37 offset0:128 offset1:129
	ds_load_b32 v36, v39 offset:20480
	ds_load_b32 v40, v37 offset:520
	ds_load_u16 v43, v37 offset:524
	s_wait_dscnt 0x4
	v_and_b32_e32 v45, 0xffff, v38
	s_wait_dscnt 0x3
	v_and_b32_e32 v46, 0xffff, v34
	v_lshrrev_b32_e32 v34, 16, v34
	v_and_b32_e32 v47, 0xffff, v35
	v_lshrrev_b32_e32 v35, 16, v35
	s_wait_dscnt 0x1
	v_lshrrev_b32_e32 v48, 16, v40
	v_add_nc_u32_e32 v46, v46, v45
	v_sub_nc_u32_e32 v45, v36, v45
	s_delay_alu instid0(VALU_DEP_2) | instskip(NEXT) | instid1(VALU_DEP_1)
	v_add_nc_u32_e32 v34, v46, v34
	v_add_nc_u32_e32 v47, v34, v47
	v_perm_b32 v34, v34, v46, 0x5040100
	s_delay_alu instid0(VALU_DEP_2) | instskip(NEXT) | instid1(VALU_DEP_1)
	v_add_nc_u32_e32 v35, v47, v35
	v_add_nc_u16 v40, v40, v35
	v_perm_b32 v35, v35, v47, 0x5040100
	s_delay_alu instid0(VALU_DEP_2) | instskip(NEXT) | instid1(VALU_DEP_1)
	v_add_nc_u16 v48, v48, v40
	v_perm_b32 v36, v48, v40, 0x5040100
	s_wait_dscnt 0x0
	v_add_nc_u16 v40, v43, v48
	ds_store_b32 v39, v45 offset:20480
	ds_store_b16 v37, v38 offset:512
	ds_store_b96 v37, v[34:36] offset:514
	ds_store_b16 v37, v40 offset:526
.LBB3_96:
	s_wait_alu 0xfffe
	s_or_b32 exec_lo, exec_lo, s0
	v_lshrrev_b32_e32 v34, s4, v1
	v_lshrrev_b32_e32 v45, s4, v9
	;; [unrolled: 1-line block ×16, first 2 shown]
	v_lshlrev_b32_e32 v34, 4, v34
	v_lshlrev_b32_e32 v45, 4, v45
	;; [unrolled: 1-line block ×16, first 2 shown]
	v_and_or_b32 v34, 0xff0, v34, v44
	v_and_or_b32 v45, 0xff0, v45, v44
	;; [unrolled: 1-line block ×16, first 2 shown]
	s_wait_loadcnt_dscnt 0x0
	s_barrier_signal -1
	s_barrier_wait -1
	global_inv scope:SCOPE_SE
	ds_load_u16 v34, v34 offset:512
	ds_load_u16 v35, v35 offset:512
	;; [unrolled: 1-line block ×16, first 2 shown]
	s_mov_b64 s[0:1], 0
	s_mov_b32 s2, 0
	s_wait_loadcnt_dscnt 0x0
	s_barrier_signal -1
	s_barrier_wait -1
	global_inv scope:SCOPE_SE
	v_add_nc_u32_e32 v17, v17, v34
	v_add_nc_u32_e32 v18, v18, v35
	;; [unrolled: 1-line block ×16, first 2 shown]
	s_branch .LBB3_98
.LBB3_97:                               ;   in Loop: Header=BB3_98 Depth=1
	s_wait_alu 0xfffe
	s_or_b32 exec_lo, exec_lo, s3
	v_add_nc_u32_e32 v34, 32, v42
	v_cmp_lt_u32_e32 vcc_lo, 0x1df, v42
	s_add_nc_u64 s[0:1], s[0:1], 1
	s_delay_alu instid0(VALU_DEP_2)
	v_mov_b32_e32 v42, v34
	s_or_b32 s2, vcc_lo, s2
	s_wait_alu 0xfffe
	s_and_not1_b32 exec_lo, exec_lo, s2
	s_cbranch_execz .LBB3_100
.LBB3_98:                               ; =>This Inner Loop Header: Depth=1
	v_add_nc_u32_e32 v34, v41, v42
	s_mov_b32 s3, exec_lo
	s_delay_alu instid0(VALU_DEP_1)
	v_cmpx_gt_u32_e64 s14, v34
	s_cbranch_execz .LBB3_97
; %bb.99:                               ;   in Loop: Header=BB3_98 Depth=1
	s_wait_alu 0xfffe
	s_mov_b32 m0, s0
	v_movrels_b32_e32 v34, v17
	v_movrels_b32_e32 v35, v1
	s_delay_alu instid0(VALU_DEP_2)
	v_lshlrev_b32_e32 v34, 2, v34
	ds_store_b32 v34, v35
	s_branch .LBB3_97
.LBB3_100:
	s_or_b32 exec_lo, exec_lo, s2
	v_mov_b32_e32 v2, 0
	s_mov_b32 s0, 0
	s_wait_loadcnt_dscnt 0x0
	s_barrier_signal -1
	s_barrier_wait -1
	global_inv scope:SCOPE_SE
	s_branch .LBB3_102
.LBB3_101:                              ;   in Loop: Header=BB3_102 Depth=1
	s_wait_alu 0xfffe
	s_or_b32 exec_lo, exec_lo, s1
	v_add_nc_u32_e32 v1, 0x100, v0
	v_cmp_lt_u32_e32 vcc_lo, 0xeff, v0
	s_delay_alu instid0(VALU_DEP_2)
	v_dual_mov_b32 v0, v1 :: v_dual_add_nc_u32 v33, 0x400, v33
	s_or_b32 s0, vcc_lo, s0
	s_wait_alu 0xfffe
	s_and_not1_b32 exec_lo, exec_lo, s0
	s_cbranch_execz .LBB3_104
.LBB3_102:                              ; =>This Inner Loop Header: Depth=1
	v_add_nc_u32_e32 v1, s15, v0
	s_mov_b32 s1, exec_lo
	s_delay_alu instid0(VALU_DEP_1)
	v_cmpx_gt_u32_e64 s14, v1
	s_cbranch_execz .LBB3_101
; %bb.103:                              ;   in Loop: Header=BB3_102 Depth=1
	ds_load_b32 v5, v33
	s_wait_dscnt 0x0
	v_bfe_u32 v1, v5, s4, 8
	s_delay_alu instid0(VALU_DEP_1) | instskip(SKIP_3) | instid1(VALU_DEP_1)
	v_lshlrev_b32_e32 v1, 2, v1
	ds_load_b32 v1, v1 offset:20480
	s_wait_dscnt 0x0
	v_add_nc_u32_e32 v1, v0, v1
	v_lshlrev_b64_e32 v[3:4], 2, v[1:2]
	s_delay_alu instid0(VALU_DEP_1) | instskip(SKIP_1) | instid1(VALU_DEP_2)
	v_add_co_u32 v3, vcc_lo, s6, v3
	s_wait_alu 0xfffd
	v_add_co_ci_u32_e64 v4, null, s7, v4, vcc_lo
	global_store_b32 v[3:4], v5, off
	s_branch .LBB3_101
.LBB3_104:
	s_endpgm
	.section	.rodata,"a",@progbits
	.p2align	6, 0x0
	.amdhsa_kernel OnesweepReorderKey64
		.amdhsa_group_segment_fixed_size 21504
		.amdhsa_private_segment_fixed_size 0
		.amdhsa_kernarg_size 56
		.amdhsa_user_sgpr_count 2
		.amdhsa_user_sgpr_dispatch_ptr 0
		.amdhsa_user_sgpr_queue_ptr 0
		.amdhsa_user_sgpr_kernarg_segment_ptr 1
		.amdhsa_user_sgpr_dispatch_id 0
		.amdhsa_user_sgpr_private_segment_size 0
		.amdhsa_wavefront_size32 1
		.amdhsa_uses_dynamic_stack 0
		.amdhsa_enable_private_segment 0
		.amdhsa_system_sgpr_workgroup_id_x 1
		.amdhsa_system_sgpr_workgroup_id_y 0
		.amdhsa_system_sgpr_workgroup_id_z 0
		.amdhsa_system_sgpr_workgroup_info 0
		.amdhsa_system_vgpr_workitem_id 0
		.amdhsa_next_free_vgpr 97
		.amdhsa_next_free_sgpr 18
		.amdhsa_reserve_vcc 1
		.amdhsa_float_round_mode_32 0
		.amdhsa_float_round_mode_16_64 0
		.amdhsa_float_denorm_mode_32 3
		.amdhsa_float_denorm_mode_16_64 3
		.amdhsa_fp16_overflow 0
		.amdhsa_workgroup_processor_mode 1
		.amdhsa_memory_ordered 1
		.amdhsa_forward_progress 1
		.amdhsa_inst_pref_size 44
		.amdhsa_round_robin_scheduling 0
		.amdhsa_exception_fp_ieee_invalid_op 0
		.amdhsa_exception_fp_denorm_src 0
		.amdhsa_exception_fp_ieee_div_zero 0
		.amdhsa_exception_fp_ieee_overflow 0
		.amdhsa_exception_fp_ieee_underflow 0
		.amdhsa_exception_fp_ieee_inexact 0
		.amdhsa_exception_int_div_zero 0
	.end_amdhsa_kernel
	.text
.Lfunc_end3:
	.size	OnesweepReorderKey64, .Lfunc_end3-OnesweepReorderKey64
                                        ; -- End function
	.set OnesweepReorderKey64.num_vgpr, 53
	.set OnesweepReorderKey64.num_agpr, 0
	.set OnesweepReorderKey64.numbered_sgpr, 18
	.set OnesweepReorderKey64.num_named_barrier, 0
	.set OnesweepReorderKey64.private_seg_size, 0
	.set OnesweepReorderKey64.uses_vcc, 1
	.set OnesweepReorderKey64.uses_flat_scratch, 0
	.set OnesweepReorderKey64.has_dyn_sized_stack, 0
	.set OnesweepReorderKey64.has_recursion, 0
	.set OnesweepReorderKey64.has_indirect_call, 0
	.section	.AMDGPU.csdata,"",@progbits
; Kernel info:
; codeLenInByte = 5516
; TotalNumSgprs: 20
; NumVgprs: 53
; ScratchSize: 0
; MemoryBound: 0
; FloatMode: 240
; IeeeMode: 1
; LDSByteSize: 21504 bytes/workgroup (compile time only)
; SGPRBlocks: 0
; VGPRBlocks: 12
; NumSGPRsForWavesPerEU: 20
; NumVGPRsForWavesPerEU: 97
; Occupancy: 12
; WaveLimiterHint : 0
; COMPUTE_PGM_RSRC2:SCRATCH_EN: 0
; COMPUTE_PGM_RSRC2:USER_SGPR: 2
; COMPUTE_PGM_RSRC2:TRAP_HANDLER: 0
; COMPUTE_PGM_RSRC2:TGID_X_EN: 1
; COMPUTE_PGM_RSRC2:TGID_Y_EN: 0
; COMPUTE_PGM_RSRC2:TGID_Z_EN: 0
; COMPUTE_PGM_RSRC2:TIDIG_COMP_CNT: 0
	.text
	.protected	OnesweepReorderKeyPair64 ; -- Begin function OnesweepReorderKeyPair64
	.globl	OnesweepReorderKeyPair64
	.p2align	8
	.type	OnesweepReorderKeyPair64,@function
OnesweepReorderKeyPair64:               ; @OnesweepReorderKeyPair64
; %bb.0:
	s_clause 0x1
	s_load_b32 s18, s[0:1], 0x20
	s_load_b256 s[4:11], s[0:1], 0x0
	v_lshrrev_b32_e32 v18, 5, v0
	s_lshl_b32 s19, ttmp9, 12
	v_dual_mov_b32 v1, 0 :: v_dual_and_b32 v42, 31, v0
	v_lshlrev_b32_e32 v43, 1, v0
	s_delay_alu instid0(VALU_DEP_3) | instskip(SKIP_1) | instid1(VALU_DEP_3)
	v_lshl_or_b32 v41, v18, 9, s19
	s_mov_b32 s2, exec_lo
	v_dual_mov_b32 v2, v1 :: v_dual_mov_b32 v3, v1
	v_mov_b32_e32 v4, v1
	s_delay_alu instid0(VALU_DEP_3)
	v_or_b32_e32 v33, v41, v42
	v_dual_mov_b32 v5, v1 :: v_dual_mov_b32 v6, v1
	v_dual_mov_b32 v7, v1 :: v_dual_mov_b32 v8, v1
	;; [unrolled: 1-line block ×6, first 2 shown]
	ds_store_b16 v43, v1 offset:512
	ds_store_b16 v43, v1 offset:1024
	ds_store_b16 v43, v1 offset:1536
	ds_store_b16 v43, v1 offset:2048
	ds_store_b16 v43, v1 offset:2560
	ds_store_b16 v43, v1 offset:3072
	ds_store_b16 v43, v1 offset:3584
	ds_store_b16 v43, v1 offset:4096
	s_wait_dscnt 0x0
	s_barrier_signal -1
	s_barrier_wait -1
	global_inv scope:SCOPE_SE
	s_wait_kmcnt 0x0
	v_cmpx_gt_u32_e64 s18, v33
	s_cbranch_execz .LBB4_2
; %bb.1:
	v_mov_b32_e32 v34, v1
	v_dual_mov_b32 v16, v1 :: v_dual_mov_b32 v17, v1
	v_dual_mov_b32 v4, v1 :: v_dual_mov_b32 v5, v1
	s_delay_alu instid0(VALU_DEP_3) | instskip(SKIP_3) | instid1(VALU_DEP_4)
	v_lshlrev_b64_e32 v[2:3], 2, v[33:34]
	v_dual_mov_b32 v6, v1 :: v_dual_mov_b32 v7, v1
	v_dual_mov_b32 v8, v1 :: v_dual_mov_b32 v9, v1
	;; [unrolled: 1-line block ×3, first 2 shown]
	v_add_co_u32 v2, vcc_lo, s4, v2
	s_delay_alu instid0(VALU_DEP_1)
	v_add_co_ci_u32_e64 v3, null, s5, v3, vcc_lo
	v_dual_mov_b32 v12, v1 :: v_dual_mov_b32 v13, v1
	v_dual_mov_b32 v14, v1 :: v_dual_mov_b32 v15, v1
	global_load_b32 v2, v[2:3], off
	v_mov_b32_e32 v3, v1
	s_wait_loadcnt 0x0
	v_mov_b32_e32 v1, v2
	s_delay_alu instid0(VALU_DEP_2)
	v_mov_b32_e32 v2, v3
	v_mov_b32_e32 v3, v4
	v_mov_b32_e32 v4, v5
	v_mov_b32_e32 v5, v6
	v_mov_b32_e32 v6, v7
	v_mov_b32_e32 v7, v8
	v_mov_b32_e32 v8, v9
	v_mov_b32_e32 v9, v10
	v_mov_b32_e32 v10, v11
	v_mov_b32_e32 v11, v12
	v_mov_b32_e32 v12, v13
	v_mov_b32_e32 v13, v14
	v_mov_b32_e32 v14, v15
	v_mov_b32_e32 v15, v16
	v_mov_b32_e32 v16, v17
.LBB4_2:
	s_or_b32 exec_lo, exec_lo, s2
	v_or_b32_e32 v17, 32, v33
	s_mov_b32 s2, exec_lo
	s_delay_alu instid0(VALU_DEP_1)
	v_cmpx_gt_u32_e64 s18, v17
	s_cbranch_execz .LBB4_4
; %bb.3:
	v_mov_b32_e32 v34, 0
	s_delay_alu instid0(VALU_DEP_1) | instskip(NEXT) | instid1(VALU_DEP_1)
	v_lshlrev_b64_e32 v[19:20], 2, v[33:34]
	v_add_co_u32 v19, vcc_lo, s4, v19
	s_wait_alu 0xfffd
	s_delay_alu instid0(VALU_DEP_2)
	v_add_co_ci_u32_e64 v20, null, s5, v20, vcc_lo
	global_load_b32 v2, v[19:20], off offset:128
.LBB4_4:
	s_or_b32 exec_lo, exec_lo, s2
	v_or_b32_e32 v17, 64, v33
	s_mov_b32 s2, exec_lo
	s_delay_alu instid0(VALU_DEP_1)
	v_cmpx_gt_u32_e64 s18, v17
	s_cbranch_execz .LBB4_6
; %bb.5:
	v_mov_b32_e32 v34, 0
	s_delay_alu instid0(VALU_DEP_1) | instskip(NEXT) | instid1(VALU_DEP_1)
	v_lshlrev_b64_e32 v[19:20], 2, v[33:34]
	v_add_co_u32 v19, vcc_lo, s4, v19
	s_wait_alu 0xfffd
	s_delay_alu instid0(VALU_DEP_2)
	v_add_co_ci_u32_e64 v20, null, s5, v20, vcc_lo
	global_load_b32 v3, v[19:20], off offset:256
.LBB4_6:
	;; [unrolled: 16-line block ×15, first 2 shown]
	s_or_b32 exec_lo, exec_lo, s2
	s_load_b64 s[4:5], s[0:1], 0x40
	v_lshlrev_b32_e64 v19, v42, -1
	v_dual_mov_b32 v17, 0 :: v_dual_lshlrev_b32 v44, 1, v18
	s_mov_b64 s[12:13], 0
	s_delay_alu instid0(VALU_DEP_2) | instskip(NEXT) | instid1(VALU_DEP_2)
	v_not_b32_e32 v34, v19
	v_dual_mov_b32 v18, v17 :: v_dual_mov_b32 v19, v17
	v_dual_mov_b32 v20, v17 :: v_dual_mov_b32 v21, v17
	;; [unrolled: 1-line block ×7, first 2 shown]
	v_mov_b32_e32 v32, v17
	s_wait_kmcnt 0x0
	s_lshl_b32 s2, s5, 3
	s_delay_alu instid0(SALU_CYCLE_1)
	s_add_co_i32 s4, s2, s4
	s_branch .LBB4_34
.LBB4_33:                               ;   in Loop: Header=BB4_34 Depth=1
	s_wait_alu 0xfffe
	s_or_b32 exec_lo, exec_lo, s2
	v_and_b32_e32 v36, v37, v34
	v_and_b32_e32 v35, 0xffff, v35
	v_add_nc_u32_e32 v33, 32, v33
	s_mov_b32 m0, s12
	s_add_nc_u64 s[12:13], s[12:13], 1
	v_bcnt_u32_b32 v36, v36, 0
	s_cmp_eq_u32 s12, 16
	s_wait_loadcnt_dscnt 0x0
	s_barrier_signal -1
	s_barrier_wait -1
	v_add_nc_u32_e32 v35, v36, v35
	global_inv scope:SCOPE_SE
	v_movreld_b32_e32 v17, v35
	s_cbranch_scc1 .LBB4_36
.LBB4_34:                               ; =>This Inner Loop Header: Depth=1
	s_mov_b32 m0, s12
	v_cmp_gt_u32_e32 vcc_lo, s18, v33
	s_wait_loadcnt 0x0
	v_movrels_b32_e32 v35, v1
	s_wait_alu 0xfffe
	s_delay_alu instid0(VALU_DEP_1) | instskip(SKIP_2) | instid1(VALU_DEP_3)
	v_bfe_u32 v36, v35, s4, 1
	v_lshrrev_b32_e32 v37, s4, v35
	v_bfe_u32 v35, v35, s4, 8
	v_add_co_u32 v36, s2, v36, -1
	s_wait_alu 0xf1ff
	v_cndmask_b32_e64 v38, 0, 1, s2
	v_bfe_u32 v39, v37, 1, 1
	v_bfe_u32 v40, v37, 2, 1
	;; [unrolled: 1-line block ×4, first 2 shown]
	v_cmp_ne_u32_e64 s2, 0, v38
	v_add_co_u32 v38, s3, v39, -1
	s_wait_alu 0xf1ff
	v_cndmask_b32_e64 v39, 0, 1, s3
	v_add_co_u32 v40, s3, v40, -1
	v_xor_b32_e32 v36, s2, v36
	s_wait_alu 0xf1ff
	v_cndmask_b32_e64 v47, 0, 1, s3
	v_cmp_ne_u32_e64 s2, 0, v39
	v_add_co_u32 v39, s3, v45, -1
	s_wait_alu 0xfffd
	v_and_b32_e32 v36, vcc_lo, v36
	s_wait_alu 0xf1ff
	v_cndmask_b32_e64 v45, 0, 1, s3
	v_xor_b32_e32 v38, s2, v38
	v_cmp_ne_u32_e64 s3, 0, v47
	v_add_co_u32 v46, s2, v46, -1
	s_wait_alu 0xf1ff
	v_cndmask_b32_e64 v47, 0, 1, s2
	v_and_b32_e32 v36, v36, v38
	v_bfe_u32 v38, v37, 5, 1
	v_cmp_ne_u32_e32 vcc_lo, 0, v45
	v_xor_b32_e32 v40, s3, v40
	v_cmp_ne_u32_e64 s2, 0, v47
	v_bfe_u32 v45, v37, 6, 1
	v_add_co_u32 v38, s3, v38, -1
	s_wait_alu 0xfffd
	v_xor_b32_e32 v39, vcc_lo, v39
	v_and_b32_e32 v36, v36, v40
	s_wait_alu 0xf1ff
	v_cndmask_b32_e64 v40, 0, 1, s3
	v_xor_b32_e32 v46, s2, v46
	v_bfe_u32 v37, v37, 7, 1
	v_and_b32_e32 v36, v36, v39
	s_delay_alu instid0(VALU_DEP_4)
	v_cmp_ne_u32_e32 vcc_lo, 0, v40
	v_add_co_u32 v39, s2, v45, -1
	s_wait_alu 0xf1ff
	v_cndmask_b32_e64 v40, 0, 1, s2
	v_and_b32_e32 v36, v36, v46
	s_wait_alu 0xfffd
	v_xor_b32_e32 v38, vcc_lo, v38
	s_delay_alu instid0(VALU_DEP_3) | instskip(NEXT) | instid1(VALU_DEP_2)
	v_cmp_ne_u32_e32 vcc_lo, 0, v40
	v_and_b32_e32 v38, v36, v38
	v_lshlrev_b32_e32 v36, 4, v35
	s_wait_alu 0xfffd
	v_xor_b32_e32 v39, vcc_lo, v39
	v_cmp_lt_u32_e32 vcc_lo, 0x7f, v35
	v_add_nc_u32_e32 v35, -1, v37
	v_or_b32_e32 v37, v44, v36
	s_delay_alu instid0(VALU_DEP_4) | instskip(SKIP_1) | instid1(VALU_DEP_3)
	v_and_b32_e32 v38, v38, v39
	s_wait_alu 0xfffd
	v_xor_b32_e32 v39, vcc_lo, v35
	ds_load_u16 v35, v37 offset:512
	s_wait_dscnt 0x0
	s_barrier_signal -1
	s_barrier_wait -1
	v_and_b32_e32 v37, v38, v39
	global_inv scope:SCOPE_SE
	v_ctz_i32_b32_e32 v38, v37
	v_cmp_ne_u32_e32 vcc_lo, 0, v37
	s_delay_alu instid0(VALU_DEP_2)
	v_cmp_eq_u32_e64 s2, v38, v42
	s_and_b32 s3, vcc_lo, s2
	s_wait_alu 0xfffe
	s_and_saveexec_b32 s2, s3
	s_cbranch_execz .LBB4_33
; %bb.35:                               ;   in Loop: Header=BB4_34 Depth=1
	v_bcnt_u32_b32 v38, v37, v35
	v_add_nc_u32_e32 v36, v44, v36
	ds_store_b16 v36, v38 offset:512
	s_branch .LBB4_33
.LBB4_36:
	v_cmp_gt_u32_e32 vcc_lo, 0x100, v0
	s_wait_loadcnt 0x0
	s_barrier_signal -1
	s_barrier_wait -1
	global_inv scope:SCOPE_SE
	s_and_saveexec_b32 s2, vcc_lo
	s_cbranch_execz .LBB4_38
; %bb.37:
	v_lshlrev_b32_e32 v37, 4, v0
	ds_load_2addr_b32 v[33:34], v37 offset0:130 offset1:131
	ds_load_2addr_b32 v[35:36], v37 offset0:128 offset1:129
	s_wait_dscnt 0x0
	v_pk_add_u16 v34, v36, v34
	v_pk_add_u16 v33, v35, v33
	s_delay_alu instid0(VALU_DEP_1) | instskip(NEXT) | instid1(VALU_DEP_1)
	v_pk_add_u16 v33, v33, v34
	v_lshrrev_b32_e32 v34, 16, v33
	s_delay_alu instid0(VALU_DEP_1)
	v_add_nc_u16 v33, v33, v34
	v_mad_i32_i24 v34, v0, -14, v37
	ds_store_b16 v34, v33
.LBB4_38:
	s_wait_alu 0xfffe
	s_or_b32 exec_lo, exec_lo, s2
	s_clause 0x1
	s_load_b128 s[12:15], s[0:1], 0x28
	s_load_b64 s[16:17], s[0:1], 0x38
	v_cmp_eq_u32_e64 s0, 0, v0
	s_cmp_gt_u32 ttmp9, 0x3ff
	s_cselect_b32 s1, -1, 0
	s_delay_alu instid0(SALU_CYCLE_1) | instskip(NEXT) | instid1(SALU_CYCLE_1)
	s_and_b32 s1, s0, s1
	s_and_saveexec_b32 s2, s1
	s_cbranch_execz .LBB4_43
; %bb.39:
	v_mov_b32_e32 v33, 0
	s_branch .LBB4_41
.LBB4_40:                               ;   in Loop: Header=BB4_41 Depth=1
	s_wait_alu 0xfffe
	s_or_b32 exec_lo, exec_lo, s3
	s_wait_loadcnt 0x0
	v_readfirstlane_b32 s1, v34
	s_and_not1_b32 s1, s1, 31
	s_delay_alu instid0(SALU_CYCLE_1) | instskip(NEXT) | instid1(SALU_CYCLE_1)
	s_addk_co_i32 s1, 0x3c0
	s_cmp_le_u32 s1, ttmp9
	s_cbranch_scc0 .LBB4_43
.LBB4_41:                               ; =>This Inner Loop Header: Depth=1
	v_mbcnt_lo_u32_b32 v34, exec_lo, 0
	s_delay_alu instid0(VALU_DEP_1)
	v_cmp_eq_u32_e64 s1, 0, v34
                                        ; implicit-def: $vgpr34
	s_and_saveexec_b32 s3, s1
	s_cbranch_execz .LBB4_40
; %bb.42:                               ;   in Loop: Header=BB4_41 Depth=1
	s_wait_kmcnt 0x0
	global_load_b32 v34, v33, s[16:17] scope:SCOPE_DEV
	s_branch .LBB4_40
.LBB4_43:
	s_wait_alu 0xfffe
	s_or_b32 exec_lo, exec_lo, s2
	s_wait_loadcnt_dscnt 0x0
	s_barrier_signal -1
	s_barrier_wait -1
	global_inv scope:SCOPE_SE
	s_and_saveexec_b32 s3, vcc_lo
	s_cbranch_execz .LBB4_51
; %bb.44:
	s_lshl_b32 s1, ttmp9, 8
	ds_load_u16 v33, v43
	v_and_or_b32 v34, 0x3ff00, s1, v0
	v_mov_b32_e32 v36, 0
	v_lshl_or_b32 v35, s5, 8, v0
	s_and_b32 s21, ttmp9, 0x3fffffff
	s_mov_b32 s20, ttmp9
	v_lshlrev_b32_e32 v37, 3, v34
	s_or_b32 s1, s21, 2.0
	v_lshlrev_b64_e32 v[39:40], 2, v[35:36]
	s_wait_alu 0xfffe
	v_mov_b32_e32 v34, s1
	s_mov_b32 s5, 0
	s_wait_kmcnt 0x0
	v_add_co_u32 v37, s1, s14, v37
	s_wait_alu 0xf1ff
	v_add_co_ci_u32_e64 v38, null, s15, 0, s1
	v_add_co_u32 v39, s1, s12, v39
	s_wait_alu 0xf1ff
	v_add_co_ci_u32_e64 v40, null, s13, v40, s1
                                        ; implicit-def: $sgpr1
	s_wait_loadcnt_dscnt 0x0
	flat_store_b64 v[37:38], v[33:34] scope:SCOPE_SYS
	s_wait_storecnt 0x0
	global_load_b32 v45, v[39:40], off
	s_branch .LBB4_46
.LBB4_45:                               ;   in Loop: Header=BB4_46 Depth=1
                                        ; implicit-def: $sgpr20
	s_wait_alu 0xfffe
	s_and_b32 s2, exec_lo, s1
	s_wait_alu 0xfffe
	s_or_b32 s5, s2, s5
	s_wait_alu 0xfffe
	s_and_not1_b32 exec_lo, exec_lo, s5
	s_cbranch_execz .LBB4_50
.LBB4_46:                               ; =>This Loop Header: Depth=1
                                        ;     Child Loop BB4_48 Depth 2
	s_or_b32 s1, s1, exec_lo
	s_cmp_lt_i32 s20, 1
	s_cbranch_scc1 .LBB4_45
; %bb.47:                               ;   in Loop: Header=BB4_46 Depth=1
	s_add_co_i32 s20, s20, -1
	s_mov_b32 s13, 0
	s_wait_alu 0xfffe
	s_lshl_b32 s1, s20, 8
	s_wait_alu 0xfffe
	v_and_or_b32 v34, 0x3ff00, s1, v0
	s_sub_co_i32 s1, ttmp9, s20
	s_wait_alu 0xfffe
	s_cmp_eq_u32 s1, 64
	s_cselect_b32 s12, 2, 3
	v_lshlrev_b32_e32 v34, 3, v34
	s_delay_alu instid0(VALU_DEP_1)
	v_add_co_u32 v34, s1, s14, v34
	s_wait_alu 0xf1ff
	v_add_co_ci_u32_e64 v35, null, s15, 0, s1
.LBB4_48:                               ;   Parent Loop BB4_46 Depth=1
                                        ; =>  This Inner Loop Header: Depth=2
	flat_load_b64 v[39:40], v[34:35] scope:SCOPE_SYS
	s_wait_loadcnt_dscnt 0x0
	v_lshrrev_b32_e32 v46, 30, v40
	v_and_b32_e32 v40, 0x3fffffff, v40
	s_wait_alu 0xfffe
	s_delay_alu instid0(VALU_DEP_2) | instskip(NEXT) | instid1(VALU_DEP_2)
	v_and_b32_e32 v47, s12, v46
	v_cmp_eq_u32_e64 s2, s20, v40
	s_delay_alu instid0(VALU_DEP_2)
	v_cmp_ne_u32_e64 s1, 0, v47
	s_and_b32 s1, s1, s2
	s_wait_alu 0xfffe
	s_and_b32 s1, exec_lo, s1
	s_wait_alu 0xfffe
	s_or_b32 s13, s1, s13
	s_wait_alu 0xfffe
	s_and_not1_b32 exec_lo, exec_lo, s13
	s_cbranch_execnz .LBB4_48
; %bb.49:                               ;   in Loop: Header=BB4_46 Depth=1
	s_or_b32 exec_lo, exec_lo, s13
	v_add_nc_u32_e32 v36, v36, v39
	v_cmp_eq_u32_e64 s1, 2, v46
	s_and_b32 s2, exec_lo, s1
	s_wait_alu 0xfffe
	s_or_b32 s5, s2, s5
	s_wait_alu 0xfffe
	s_and_not1_b32 exec_lo, exec_lo, s5
	s_cbranch_execnz .LBB4_46
.LBB4_50:
	s_or_b32 exec_lo, exec_lo, s5
	s_bitset1_b32 s21, 31
	s_wait_alu 0xfffe
	v_dual_mov_b32 v34, s21 :: v_dual_add_nc_u32 v33, v36, v33
	s_wait_loadcnt 0x0
	v_add_nc_u32_e32 v35, v36, v45
	v_lshlrev_b32_e32 v36, 2, v0
	flat_store_b64 v[37:38], v[33:34] scope:SCOPE_SYS
	s_wait_storecnt 0x0
	ds_store_b32 v36, v35 offset:20480
.LBB4_51:
	s_wait_alu 0xfffe
	s_or_b32 exec_lo, exec_lo, s3
; %bb.52:
	s_wait_loadcnt_dscnt 0x0
	s_barrier_signal -1
	s_barrier_wait -1
	global_inv scope:SCOPE_SE
	s_and_saveexec_b32 s1, s0
	s_cbranch_execz .LBB4_58
; %bb.53:
	v_mov_b32_e32 v33, 0
	s_branch .LBB4_55
.LBB4_54:                               ;   in Loop: Header=BB4_55 Depth=1
	s_wait_alu 0xfffe
	s_or_b32 exec_lo, exec_lo, s2
	s_wait_loadcnt 0x0
	v_readfirstlane_b32 s0, v34
	s_xor_b32 s0, s0, ttmp9
	s_wait_alu 0xfffe
	s_cmp_gt_u32 s0, 31
	s_cbranch_scc0 .LBB4_57
.LBB4_55:                               ; =>This Inner Loop Header: Depth=1
	v_mbcnt_lo_u32_b32 v34, exec_lo, 0
	s_delay_alu instid0(VALU_DEP_1)
	v_cmp_eq_u32_e64 s0, 0, v34
                                        ; implicit-def: $vgpr34
	s_and_saveexec_b32 s2, s0
	s_cbranch_execz .LBB4_54
; %bb.56:                               ;   in Loop: Header=BB4_55 Depth=1
	s_wait_kmcnt 0x0
	global_load_b32 v34, v33, s[16:17] scope:SCOPE_DEV
	s_branch .LBB4_54
.LBB4_57:
	s_add_co_i32 s0, s18, 0xfff
	s_wait_alu 0xfffe
	s_lshr_b32 s0, s0, 12
	s_wait_alu 0xfffe
	s_add_co_i32 s0, s0, -1
	s_wait_alu 0xfffe
	v_dual_mov_b32 v33, 0 :: v_dual_mov_b32 v34, s0
	s_wait_kmcnt 0x0
	global_atomic_inc_u32 v33, v34, s[16:17] scope:SCOPE_DEV
.LBB4_58:
	s_wait_alu 0xfffe
	s_or_b32 exec_lo, exec_lo, s1
	v_cmp_gt_u32_e64 s0, 0x100, v0
	v_mov_b32_e32 v33, 0
	s_wait_loadcnt 0x0
	s_wait_storecnt 0x0
	s_barrier_signal -1
	s_barrier_wait -1
	global_inv scope:SCOPE_SE
	s_and_saveexec_b32 s1, s0
; %bb.59:
	ds_load_u16 v33, v43
; %bb.60:
	s_wait_alu 0xfffe
	s_or_b32 exec_lo, exec_lo, s1
	v_or_b32_e32 v35, 0xffffff00, v0
	s_wait_dscnt 0x0
	v_mov_b32_e32 v34, v33
	s_mov_b32 s2, exec_lo
	s_delay_alu instid0(VALU_DEP_2)
	v_cmpx_lt_u32_e32 0xffffff00, v35
	s_cbranch_execz .LBB4_62
; %bb.61:
	v_add_nc_u32_e32 v34, -2, v43
	ds_load_u16 v34, v34
	s_wait_dscnt 0x0
	v_add_nc_u16 v34, v34, v33
.LBB4_62:
	s_wait_alu 0xfffe
	s_or_b32 exec_lo, exec_lo, s2
	s_wait_loadcnt 0x0
	s_barrier_signal -1
	s_barrier_wait -1
	global_inv scope:SCOPE_SE
	s_and_saveexec_b32 s1, s0
; %bb.63:
	ds_store_b16 v43, v34
; %bb.64:
	s_wait_alu 0xfffe
	s_or_b32 exec_lo, exec_lo, s1
	s_delay_alu instid0(SALU_CYCLE_1)
	s_mov_b32 s2, exec_lo
	s_wait_loadcnt_dscnt 0x0
	s_barrier_signal -1
	s_barrier_wait -1
	global_inv scope:SCOPE_SE
	v_cmpx_lt_u32_e32 0xffffff01, v35
	s_cbranch_execz .LBB4_66
; %bb.65:
	v_add_nc_u32_e32 v36, -4, v43
	ds_load_u16 v36, v36
	s_wait_dscnt 0x0
	v_add_nc_u16 v34, v36, v34
.LBB4_66:
	s_wait_alu 0xfffe
	s_or_b32 exec_lo, exec_lo, s2
	s_wait_loadcnt 0x0
	s_barrier_signal -1
	s_barrier_wait -1
	global_inv scope:SCOPE_SE
	s_and_saveexec_b32 s1, s0
; %bb.67:
	ds_store_b16 v43, v34
; %bb.68:
	s_wait_alu 0xfffe
	s_or_b32 exec_lo, exec_lo, s1
	s_delay_alu instid0(SALU_CYCLE_1)
	s_mov_b32 s2, exec_lo
	s_wait_loadcnt_dscnt 0x0
	s_barrier_signal -1
	s_barrier_wait -1
	global_inv scope:SCOPE_SE
	;; [unrolled: 26-line block ×4, first 2 shown]
	v_cmpx_lt_u32_e32 0xffffff0f, v35
	s_cbranch_execz .LBB4_78
; %bb.77:
	v_subrev_nc_u32_e32 v36, 32, v43
	ds_load_u16 v36, v36
	s_wait_dscnt 0x0
	v_add_nc_u16 v34, v36, v34
.LBB4_78:
	s_wait_alu 0xfffe
	s_or_b32 exec_lo, exec_lo, s2
	s_wait_loadcnt 0x0
	s_barrier_signal -1
	s_barrier_wait -1
	global_inv scope:SCOPE_SE
	s_and_saveexec_b32 s1, s0
; %bb.79:
	ds_store_b16 v43, v34
; %bb.80:
	s_wait_alu 0xfffe
	s_or_b32 exec_lo, exec_lo, s1
	s_delay_alu instid0(SALU_CYCLE_1)
	s_mov_b32 s2, exec_lo
	s_wait_loadcnt_dscnt 0x0
	s_barrier_signal -1
	s_barrier_wait -1
	global_inv scope:SCOPE_SE
	v_cmpx_lt_u32_e32 0xffffff1f, v35
	s_cbranch_execz .LBB4_82
; %bb.81:
	v_subrev_nc_u32_e32 v36, 64, v43
	ds_load_u16 v36, v36
	s_wait_dscnt 0x0
	v_add_nc_u16 v34, v36, v34
.LBB4_82:
	s_wait_alu 0xfffe
	s_or_b32 exec_lo, exec_lo, s2
	s_wait_loadcnt 0x0
	s_barrier_signal -1
	s_barrier_wait -1
	global_inv scope:SCOPE_SE
	s_and_saveexec_b32 s1, s0
; %bb.83:
	ds_store_b16 v43, v34
; %bb.84:
	s_wait_alu 0xfffe
	s_or_b32 exec_lo, exec_lo, s1
	s_delay_alu instid0(SALU_CYCLE_1)
	s_mov_b32 s2, exec_lo
	s_wait_loadcnt_dscnt 0x0
	s_barrier_signal -1
	s_barrier_wait -1
	global_inv scope:SCOPE_SE
	v_cmpx_lt_u32_e32 0xffffff3f, v35
	s_cbranch_execz .LBB4_86
; %bb.85:
	v_add_nc_u32_e32 v35, 0xffffff80, v43
	ds_load_u16 v35, v35
	s_wait_dscnt 0x0
	v_add_nc_u16 v34, v35, v34
.LBB4_86:
	s_wait_alu 0xfffe
	s_or_b32 exec_lo, exec_lo, s2
	s_wait_loadcnt 0x0
	s_barrier_signal -1
	s_barrier_wait -1
	global_inv scope:SCOPE_SE
	s_and_saveexec_b32 s1, s0
; %bb.87:
	ds_store_b16 v43, v34
; %bb.88:
	s_wait_alu 0xfffe
	s_or_b32 exec_lo, exec_lo, s1
	v_and_b32_e32 v35, 0x80, v0
	s_mov_b32 s2, exec_lo
	s_wait_loadcnt_dscnt 0x0
	s_barrier_signal -1
	s_barrier_wait -1
	global_inv scope:SCOPE_SE
	v_cmpx_ne_u32_e32 0, v35
	s_cbranch_execz .LBB4_90
; %bb.89:
	v_add_nc_u32_e32 v35, 0xffffff00, v43
	ds_load_u16 v35, v35
	s_wait_dscnt 0x0
	v_add_nc_u16 v34, v35, v34
.LBB4_90:
	s_wait_alu 0xfffe
	s_or_b32 exec_lo, exec_lo, s2
	s_wait_loadcnt 0x0
	s_barrier_signal -1
	s_barrier_wait -1
	global_inv scope:SCOPE_SE
	s_and_saveexec_b32 s1, s0
; %bb.91:
	ds_store_b16 v43, v34
; %bb.92:
	s_wait_alu 0xfffe
	s_or_b32 exec_lo, exec_lo, s1
	s_wait_loadcnt_dscnt 0x0
	s_barrier_signal -1
	s_barrier_wait -1
	global_inv scope:SCOPE_SE
	s_wait_loadcnt 0x0
	s_barrier_signal -1
	s_barrier_wait -1
	global_inv scope:SCOPE_SE
	s_and_saveexec_b32 s1, s0
; %bb.93:
	v_sub_nc_u16 v33, v34, v33
	ds_store_b16 v43, v33
; %bb.94:
	s_wait_alu 0xfffe
	s_or_b32 exec_lo, exec_lo, s1
	v_lshlrev_b32_e32 v35, 2, v0
	s_wait_loadcnt_dscnt 0x0
	s_barrier_signal -1
	s_barrier_wait -1
	global_inv scope:SCOPE_SE
	s_and_saveexec_b32 s0, vcc_lo
	s_cbranch_execz .LBB4_96
; %bb.95:
	v_mad_u32_u24 v39, v0, 14, v43
	ds_load_u16 v40, v43
	ds_load_2addr_b32 v[33:34], v39 offset0:128 offset1:129
	v_lshlrev_b32_e32 v43, 2, v0
	ds_load_b32 v36, v43 offset:20480
	ds_load_b32 v37, v39 offset:520
	ds_load_u16 v45, v39 offset:524
	s_wait_dscnt 0x4
	v_and_b32_e32 v38, 0xffff, v40
	s_wait_dscnt 0x3
	v_and_b32_e32 v46, 0xffff, v33
	v_lshrrev_b32_e32 v33, 16, v33
	v_and_b32_e32 v47, 0xffff, v34
	v_lshrrev_b32_e32 v34, 16, v34
	s_wait_dscnt 0x2
	v_sub_nc_u32_e32 v50, v36, v38
	v_add_nc_u32_e32 v46, v46, v38
	s_wait_dscnt 0x1
	v_lshrrev_b32_e32 v48, 16, v37
	s_delay_alu instid0(VALU_DEP_2) | instskip(NEXT) | instid1(VALU_DEP_1)
	v_add_nc_u32_e32 v33, v46, v33
	v_add_nc_u32_e32 v47, v33, v47
	v_perm_b32 v36, v33, v46, 0x5040100
	s_delay_alu instid0(VALU_DEP_2) | instskip(NEXT) | instid1(VALU_DEP_1)
	v_add_nc_u32_e32 v34, v47, v34
	v_add_nc_u16 v49, v37, v34
	v_perm_b32 v37, v34, v47, 0x5040100
	s_delay_alu instid0(VALU_DEP_2) | instskip(NEXT) | instid1(VALU_DEP_1)
	v_add_nc_u16 v48, v48, v49
	v_perm_b32 v38, v48, v49, 0x5040100
	s_wait_dscnt 0x0
	v_add_nc_u16 v33, v45, v48
	ds_store_b32 v43, v50 offset:20480
	ds_store_b16 v39, v40 offset:512
	ds_store_b96 v39, v[36:38] offset:514
	ds_store_b16 v39, v33 offset:526
.LBB4_96:
	s_wait_alu 0xfffe
	s_or_b32 exec_lo, exec_lo, s0
	v_lshrrev_b32_e32 v33, s4, v1
	v_lshrrev_b32_e32 v45, s4, v9
	;; [unrolled: 1-line block ×16, first 2 shown]
	v_lshlrev_b32_e32 v33, 4, v33
	v_lshlrev_b32_e32 v45, 4, v45
	;; [unrolled: 1-line block ×16, first 2 shown]
	v_and_or_b32 v33, 0xff0, v33, v44
	v_and_or_b32 v45, 0xff0, v45, v44
	;; [unrolled: 1-line block ×16, first 2 shown]
	s_wait_loadcnt_dscnt 0x0
	s_barrier_signal -1
	s_barrier_wait -1
	global_inv scope:SCOPE_SE
	ds_load_u16 v33, v33 offset:512
	ds_load_u16 v34, v34 offset:512
	ds_load_u16 v36, v36 offset:512
	ds_load_u16 v37, v37 offset:512
	ds_load_u16 v38, v38 offset:512
	ds_load_u16 v39, v39 offset:512
	ds_load_u16 v40, v40 offset:512
	ds_load_u16 v43, v43 offset:512
	ds_load_u16 v45, v45 offset:512
	ds_load_u16 v46, v46 offset:512
	ds_load_u16 v47, v47 offset:512
	ds_load_u16 v48, v48 offset:512
	ds_load_u16 v49, v49 offset:512
	ds_load_u16 v50, v50 offset:512
	ds_load_u16 v51, v51 offset:512
	ds_load_u16 v44, v44 offset:512
	s_mov_b64 s[0:1], 0
	s_mov_b32 s2, 0
	s_wait_loadcnt_dscnt 0x0
	s_barrier_signal -1
	s_barrier_wait -1
	global_inv scope:SCOPE_SE
	v_add_nc_u32_e32 v17, v17, v33
	v_add_nc_u32_e32 v18, v18, v34
	;; [unrolled: 1-line block ×15, first 2 shown]
	v_dual_mov_b32 v33, v42 :: v_dual_add_nc_u32 v32, v32, v44
	s_branch .LBB4_98
.LBB4_97:                               ;   in Loop: Header=BB4_98 Depth=1
	s_wait_alu 0xfffe
	s_or_b32 exec_lo, exec_lo, s3
	v_add_nc_u32_e32 v34, 32, v33
	v_cmp_lt_u32_e32 vcc_lo, 0x1df, v33
	s_add_nc_u64 s[0:1], s[0:1], 1
	s_delay_alu instid0(VALU_DEP_2)
	v_mov_b32_e32 v33, v34
	s_or_b32 s2, vcc_lo, s2
	s_wait_alu 0xfffe
	s_and_not1_b32 exec_lo, exec_lo, s2
	s_cbranch_execz .LBB4_100
.LBB4_98:                               ; =>This Inner Loop Header: Depth=1
	s_delay_alu instid0(VALU_DEP_1) | instskip(SKIP_1) | instid1(VALU_DEP_1)
	v_add_nc_u32_e32 v34, v41, v33
	s_mov_b32 s3, exec_lo
	v_cmpx_gt_u32_e64 s18, v34
	s_cbranch_execz .LBB4_97
; %bb.99:                               ;   in Loop: Header=BB4_98 Depth=1
	s_wait_alu 0xfffe
	s_mov_b32 m0, s0
	v_movrels_b32_e32 v34, v17
	v_movrels_b32_e32 v36, v1
	s_delay_alu instid0(VALU_DEP_2)
	v_lshlrev_b32_e32 v34, 2, v34
	ds_store_b32 v34, v36
	s_branch .LBB4_97
.LBB4_100:
	s_or_b32 exec_lo, exec_lo, s2
	v_dual_mov_b32 v34, 0 :: v_dual_mov_b32 v37, v0
	v_mov_b32_e32 v36, v35
	s_mov_b32 s0, 0
	s_wait_loadcnt_dscnt 0x0
	s_barrier_signal -1
	s_barrier_wait -1
	global_inv scope:SCOPE_SE
	s_branch .LBB4_102
.LBB4_101:                              ;   in Loop: Header=BB4_102 Depth=1
	s_wait_alu 0xfffe
	s_or_b32 exec_lo, exec_lo, s1
	v_add_nc_u32_e32 v33, 0x100, v37
	v_cmp_lt_u32_e32 vcc_lo, 0xeff, v37
	s_delay_alu instid0(VALU_DEP_2)
	v_dual_mov_b32 v37, v33 :: v_dual_add_nc_u32 v36, 0x400, v36
	s_or_b32 s0, vcc_lo, s0
	s_wait_alu 0xfffe
	s_and_not1_b32 exec_lo, exec_lo, s0
	s_cbranch_execz .LBB4_104
.LBB4_102:                              ; =>This Inner Loop Header: Depth=1
	v_add_nc_u32_e32 v33, s19, v37
	s_mov_b32 s1, exec_lo
	s_delay_alu instid0(VALU_DEP_1)
	v_cmpx_gt_u32_e64 s18, v33
	s_cbranch_execz .LBB4_101
; %bb.103:                              ;   in Loop: Header=BB4_102 Depth=1
	ds_load_b32 v40, v36
	s_wait_dscnt 0x0
	v_bfe_u32 v33, v40, s4, 8
	s_delay_alu instid0(VALU_DEP_1) | instskip(SKIP_3) | instid1(VALU_DEP_1)
	v_lshlrev_b32_e32 v33, 2, v33
	ds_load_b32 v33, v33 offset:20480
	s_wait_dscnt 0x0
	v_add_nc_u32_e32 v33, v37, v33
	v_lshlrev_b64_e32 v[38:39], 2, v[33:34]
	s_delay_alu instid0(VALU_DEP_1) | instskip(SKIP_1) | instid1(VALU_DEP_2)
	v_add_co_u32 v38, vcc_lo, s6, v38
	s_wait_alu 0xfffd
	v_add_co_ci_u32_e64 v39, null, s7, v39, vcc_lo
	global_store_b32 v[38:39], v40, off
	s_branch .LBB4_101
.LBB4_104:
	s_or_b32 exec_lo, exec_lo, s0
	v_mov_b32_e32 v34, 0
	s_mov_b64 s[0:1], 0
	s_mov_b32 s2, 0
	s_wait_loadcnt 0x0
	s_wait_storecnt 0x0
	s_barrier_signal -1
	s_barrier_wait -1
	global_inv scope:SCOPE_SE
	s_branch .LBB4_106
.LBB4_105:                              ;   in Loop: Header=BB4_106 Depth=1
	s_wait_alu 0xfffe
	s_or_b32 exec_lo, exec_lo, s3
	v_add_nc_u32_e32 v33, 32, v42
	v_cmp_lt_u32_e32 vcc_lo, 0x1df, v42
	s_add_nc_u64 s[0:1], s[0:1], 1
	s_delay_alu instid0(VALU_DEP_2)
	v_mov_b32_e32 v42, v33
	s_or_b32 s2, vcc_lo, s2
	s_wait_alu 0xfffe
	s_and_not1_b32 exec_lo, exec_lo, s2
	s_cbranch_execz .LBB4_108
.LBB4_106:                              ; =>This Inner Loop Header: Depth=1
	v_add_nc_u32_e32 v33, v41, v42
	s_mov_b32 s3, exec_lo
	s_delay_alu instid0(VALU_DEP_1)
	v_cmpx_gt_u32_e64 s18, v33
	s_cbranch_execz .LBB4_105
; %bb.107:                              ;   in Loop: Header=BB4_106 Depth=1
	v_lshlrev_b64_e32 v[36:37], 2, v[33:34]
	s_wait_alu 0xfffe
	s_mov_b32 m0, s0
	s_delay_alu instid0(VALU_DEP_1) | instskip(SKIP_1) | instid1(VALU_DEP_2)
	v_add_co_u32 v36, vcc_lo, s8, v36
	s_wait_alu 0xfffd
	v_add_co_ci_u32_e64 v37, null, s9, v37, vcc_lo
	global_load_b32 v33, v[36:37], off
	v_movrels_b32_e32 v36, v17
	v_movrels_b32_e32 v37, v1
	s_delay_alu instid0(VALU_DEP_2) | instskip(NEXT) | instid1(VALU_DEP_2)
	v_lshlrev_b32_e32 v38, 2, v36
	v_lshrrev_b32_e32 v37, s4, v37
	s_wait_loadcnt 0x0
	ds_store_b32 v38, v33
	ds_store_b8 v36, v37 offset:16384
	s_branch .LBB4_105
.LBB4_108:
	s_or_b32 exec_lo, exec_lo, s2
	v_mov_b32_e32 v2, 0
	s_mov_b32 s0, 0
	s_wait_loadcnt_dscnt 0x0
	s_barrier_signal -1
	s_barrier_wait -1
	global_inv scope:SCOPE_SE
	s_branch .LBB4_110
.LBB4_109:                              ;   in Loop: Header=BB4_110 Depth=1
	s_wait_alu 0xfffe
	s_or_b32 exec_lo, exec_lo, s1
	v_add_nc_u32_e32 v1, 0x100, v0
	v_cmp_lt_u32_e32 vcc_lo, 0xeff, v0
	s_delay_alu instid0(VALU_DEP_2)
	v_dual_mov_b32 v0, v1 :: v_dual_add_nc_u32 v35, 0x400, v35
	s_or_b32 s0, vcc_lo, s0
	s_wait_alu 0xfffe
	s_and_not1_b32 exec_lo, exec_lo, s0
	s_cbranch_execz .LBB4_112
.LBB4_110:                              ; =>This Inner Loop Header: Depth=1
	v_add_nc_u32_e32 v1, s19, v0
	s_mov_b32 s1, exec_lo
	s_delay_alu instid0(VALU_DEP_1)
	v_cmpx_gt_u32_e64 s18, v1
	s_cbranch_execz .LBB4_109
; %bb.111:                              ;   in Loop: Header=BB4_110 Depth=1
	ds_load_u8 v1, v0 offset:16384
	s_wait_dscnt 0x0
	v_lshlrev_b32_e32 v1, 2, v1
	ds_load_b32 v1, v1 offset:20480
	ds_load_b32 v5, v35
	s_wait_dscnt 0x1
	v_add_nc_u32_e32 v1, v0, v1
	s_delay_alu instid0(VALU_DEP_1) | instskip(NEXT) | instid1(VALU_DEP_1)
	v_lshlrev_b64_e32 v[3:4], 2, v[1:2]
	v_add_co_u32 v3, vcc_lo, s10, v3
	s_wait_alu 0xfffd
	s_delay_alu instid0(VALU_DEP_2)
	v_add_co_ci_u32_e64 v4, null, s11, v4, vcc_lo
	s_wait_dscnt 0x0
	global_store_b32 v[3:4], v5, off
	s_branch .LBB4_109
.LBB4_112:
	s_endpgm
	.section	.rodata,"a",@progbits
	.p2align	6, 0x0
	.amdhsa_kernel OnesweepReorderKeyPair64
		.amdhsa_group_segment_fixed_size 21504
		.amdhsa_private_segment_fixed_size 0
		.amdhsa_kernarg_size 72
		.amdhsa_user_sgpr_count 2
		.amdhsa_user_sgpr_dispatch_ptr 0
		.amdhsa_user_sgpr_queue_ptr 0
		.amdhsa_user_sgpr_kernarg_segment_ptr 1
		.amdhsa_user_sgpr_dispatch_id 0
		.amdhsa_user_sgpr_private_segment_size 0
		.amdhsa_wavefront_size32 1
		.amdhsa_uses_dynamic_stack 0
		.amdhsa_enable_private_segment 0
		.amdhsa_system_sgpr_workgroup_id_x 1
		.amdhsa_system_sgpr_workgroup_id_y 0
		.amdhsa_system_sgpr_workgroup_id_z 0
		.amdhsa_system_sgpr_workgroup_info 0
		.amdhsa_system_vgpr_workitem_id 0
		.amdhsa_next_free_vgpr 97
		.amdhsa_next_free_sgpr 22
		.amdhsa_reserve_vcc 1
		.amdhsa_float_round_mode_32 0
		.amdhsa_float_round_mode_16_64 0
		.amdhsa_float_denorm_mode_32 3
		.amdhsa_float_denorm_mode_16_64 3
		.amdhsa_fp16_overflow 0
		.amdhsa_workgroup_processor_mode 1
		.amdhsa_memory_ordered 1
		.amdhsa_forward_progress 1
		.amdhsa_inst_pref_size 47
		.amdhsa_round_robin_scheduling 0
		.amdhsa_exception_fp_ieee_invalid_op 0
		.amdhsa_exception_fp_denorm_src 0
		.amdhsa_exception_fp_ieee_div_zero 0
		.amdhsa_exception_fp_ieee_overflow 0
		.amdhsa_exception_fp_ieee_underflow 0
		.amdhsa_exception_fp_ieee_inexact 0
		.amdhsa_exception_int_div_zero 0
	.end_amdhsa_kernel
	.text
.Lfunc_end4:
	.size	OnesweepReorderKeyPair64, .Lfunc_end4-OnesweepReorderKeyPair64
                                        ; -- End function
	.set OnesweepReorderKeyPair64.num_vgpr, 53
	.set OnesweepReorderKeyPair64.num_agpr, 0
	.set OnesweepReorderKeyPair64.numbered_sgpr, 22
	.set OnesweepReorderKeyPair64.num_named_barrier, 0
	.set OnesweepReorderKeyPair64.private_seg_size, 0
	.set OnesweepReorderKeyPair64.uses_vcc, 1
	.set OnesweepReorderKeyPair64.uses_flat_scratch, 0
	.set OnesweepReorderKeyPair64.has_dyn_sized_stack, 0
	.set OnesweepReorderKeyPair64.has_recursion, 0
	.set OnesweepReorderKeyPair64.has_indirect_call, 0
	.section	.AMDGPU.csdata,"",@progbits
; Kernel info:
; codeLenInByte = 5956
; TotalNumSgprs: 24
; NumVgprs: 53
; ScratchSize: 0
; MemoryBound: 0
; FloatMode: 240
; IeeeMode: 1
; LDSByteSize: 21504 bytes/workgroup (compile time only)
; SGPRBlocks: 0
; VGPRBlocks: 12
; NumSGPRsForWavesPerEU: 24
; NumVGPRsForWavesPerEU: 97
; Occupancy: 12
; WaveLimiterHint : 0
; COMPUTE_PGM_RSRC2:SCRATCH_EN: 0
; COMPUTE_PGM_RSRC2:USER_SGPR: 2
; COMPUTE_PGM_RSRC2:TRAP_HANDLER: 0
; COMPUTE_PGM_RSRC2:TGID_X_EN: 1
; COMPUTE_PGM_RSRC2:TGID_Y_EN: 0
; COMPUTE_PGM_RSRC2:TGID_Z_EN: 0
; COMPUTE_PGM_RSRC2:TIDIG_COMP_CNT: 0
	.text
	.p2alignl 7, 3214868480
	.fill 96, 4, 3214868480
	.section	.AMDGPU.gpr_maximums,"",@progbits
	.set amdgpu.max_num_vgpr, 0
	.set amdgpu.max_num_agpr, 0
	.set amdgpu.max_num_sgpr, 0
	.text
	.type	__hip_cuid_fdc697a0b391153d,@object ; @__hip_cuid_fdc697a0b391153d
	.section	.bss,"aw",@nobits
	.globl	__hip_cuid_fdc697a0b391153d
__hip_cuid_fdc697a0b391153d:
	.byte	0                               ; 0x0
	.size	__hip_cuid_fdc697a0b391153d, 1

	.ident	"AMD clang version 22.0.0git (https://github.com/RadeonOpenCompute/llvm-project roc-7.2.4 26084 f58b06dce1f9c15707c5f808fd002e18c2accf7e)"
	.section	".note.GNU-stack","",@progbits
	.addrsig
	.addrsig_sym __hip_cuid_fdc697a0b391153d
	.amdgpu_metadata
---
amdhsa.kernels:
  - .args:
      - .address_space:  global
        .offset:         0
        .size:           8
        .value_kind:     global_buffer
      - .address_space:  global
        .offset:         8
        .size:           8
        .value_kind:     global_buffer
      - .offset:         16
        .size:           4
        .value_kind:     by_value
      - .offset:         20
        .size:           4
        .value_kind:     by_value
      - .offset:         24
        .size:           4
        .value_kind:     by_value
    .group_segment_fixed_size: 17456
    .kernarg_segment_align: 8
    .kernarg_segment_size: 28
    .language:       OpenCL C
    .language_version:
      - 2
      - 0
    .max_flat_workgroup_size: 1024
    .name:           SortSinglePassKernel
    .private_segment_fixed_size: 0
    .sgpr_count:     45
    .sgpr_spill_count: 0
    .symbol:         SortSinglePassKernel.kd
    .uniform_work_group_size: 1
    .uses_dynamic_stack: false
    .vgpr_count:     132
    .vgpr_spill_count: 0
    .wavefront_size: 32
    .workgroup_processor_mode: 1
  - .args:
      - .address_space:  global
        .offset:         0
        .size:           8
        .value_kind:     global_buffer
      - .address_space:  global
        .offset:         8
        .size:           8
        .value_kind:     global_buffer
      - .address_space:  global
        .offset:         16
        .size:           8
        .value_kind:     global_buffer
      - .address_space:  global
        .offset:         24
        .size:           8
        .value_kind:     global_buffer
      - .offset:         32
        .size:           4
        .value_kind:     by_value
      - .offset:         36
        .size:           4
        .value_kind:     by_value
      - .offset:         40
        .size:           4
        .value_kind:     by_value
    .group_segment_fixed_size: 29744
    .kernarg_segment_align: 8
    .kernarg_segment_size: 44
    .language:       OpenCL C
    .language_version:
      - 2
      - 0
    .max_flat_workgroup_size: 1024
    .name:           SortSinglePassKVKernel
    .private_segment_fixed_size: 0
    .sgpr_count:     49
    .sgpr_spill_count: 0
    .symbol:         SortSinglePassKVKernel.kd
    .uniform_work_group_size: 1
    .uses_dynamic_stack: false
    .vgpr_count:     155
    .vgpr_spill_count: 0
    .wavefront_size: 32
    .workgroup_processor_mode: 1
  - .args:
      - .address_space:  global
        .offset:         0
        .size:           8
        .value_kind:     global_buffer
      - .offset:         8
        .size:           4
        .value_kind:     by_value
      - .address_space:  global
        .offset:         16
        .size:           8
        .value_kind:     global_buffer
      - .offset:         24
        .size:           4
        .value_kind:     by_value
      - .address_space:  global
        .offset:         32
        .size:           8
        .value_kind:     global_buffer
    .group_segment_fixed_size: 4100
    .kernarg_segment_align: 8
    .kernarg_segment_size: 40
    .language:       OpenCL C
    .language_version:
      - 2
      - 0
    .max_flat_workgroup_size: 1024
    .name:           GHistogram
    .private_segment_fixed_size: 0
    .sgpr_count:     17
    .sgpr_spill_count: 0
    .symbol:         GHistogram.kd
    .uniform_work_group_size: 1
    .uses_dynamic_stack: false
    .vgpr_count:     10
    .vgpr_spill_count: 0
    .wavefront_size: 32
    .workgroup_processor_mode: 1
  - .args:
      - .address_space:  global
        .offset:         0
        .size:           8
        .value_kind:     global_buffer
      - .address_space:  global
        .offset:         8
        .size:           8
        .value_kind:     global_buffer
      - .offset:         16
        .size:           4
        .value_kind:     by_value
      - .address_space:  global
        .offset:         24
        .size:           8
        .value_kind:     global_buffer
      - .address_space:  global
        .offset:         32
        .size:           8
        .value_kind:     global_buffer
      - .address_space:  global
        .offset:         40
        .size:           8
        .value_kind:     global_buffer
      - .offset:         48
        .size:           4
        .value_kind:     by_value
      - .offset:         52
        .size:           4
        .value_kind:     by_value
    .group_segment_fixed_size: 21504
    .kernarg_segment_align: 8
    .kernarg_segment_size: 56
    .language:       OpenCL C
    .language_version:
      - 2
      - 0
    .max_flat_workgroup_size: 256
    .name:           OnesweepReorderKey64
    .private_segment_fixed_size: 0
    .sgpr_count:     20
    .sgpr_spill_count: 0
    .symbol:         OnesweepReorderKey64.kd
    .uniform_work_group_size: 1
    .uses_dynamic_stack: false
    .vgpr_count:     53
    .vgpr_spill_count: 0
    .wavefront_size: 32
    .workgroup_processor_mode: 1
  - .args:
      - .address_space:  global
        .offset:         0
        .size:           8
        .value_kind:     global_buffer
      - .address_space:  global
        .offset:         8
        .size:           8
        .value_kind:     global_buffer
      - .address_space:  global
        .offset:         16
        .size:           8
        .value_kind:     global_buffer
      - .address_space:  global
        .offset:         24
        .size:           8
        .value_kind:     global_buffer
      - .offset:         32
        .size:           4
        .value_kind:     by_value
      - .address_space:  global
        .offset:         40
        .size:           8
        .value_kind:     global_buffer
      - .address_space:  global
        .offset:         48
        .size:           8
        .value_kind:     global_buffer
      - .address_space:  global
        .offset:         56
        .size:           8
        .value_kind:     global_buffer
      - .offset:         64
        .size:           4
        .value_kind:     by_value
      - .offset:         68
        .size:           4
        .value_kind:     by_value
    .group_segment_fixed_size: 21504
    .kernarg_segment_align: 8
    .kernarg_segment_size: 72
    .language:       OpenCL C
    .language_version:
      - 2
      - 0
    .max_flat_workgroup_size: 256
    .name:           OnesweepReorderKeyPair64
    .private_segment_fixed_size: 0
    .sgpr_count:     24
    .sgpr_spill_count: 0
    .symbol:         OnesweepReorderKeyPair64.kd
    .uniform_work_group_size: 1
    .uses_dynamic_stack: false
    .vgpr_count:     53
    .vgpr_spill_count: 0
    .wavefront_size: 32
    .workgroup_processor_mode: 1
amdhsa.target:   amdgcn-amd-amdhsa--gfx1201
amdhsa.version:
  - 1
  - 2
...

	.end_amdgpu_metadata
